;; amdgpu-corpus repo=ROCm/rocFFT kind=compiled arch=gfx906 opt=O3
	.text
	.amdgcn_target "amdgcn-amd-amdhsa--gfx906"
	.amdhsa_code_object_version 6
	.protected	fft_rtc_back_len2016_factors_2_2_2_2_2_3_3_7_wgs_224_tpt_112_halfLds_sp_op_CI_CI_unitstride_sbrr_R2C_dirReg ; -- Begin function fft_rtc_back_len2016_factors_2_2_2_2_2_3_3_7_wgs_224_tpt_112_halfLds_sp_op_CI_CI_unitstride_sbrr_R2C_dirReg
	.globl	fft_rtc_back_len2016_factors_2_2_2_2_2_3_3_7_wgs_224_tpt_112_halfLds_sp_op_CI_CI_unitstride_sbrr_R2C_dirReg
	.p2align	8
	.type	fft_rtc_back_len2016_factors_2_2_2_2_2_3_3_7_wgs_224_tpt_112_halfLds_sp_op_CI_CI_unitstride_sbrr_R2C_dirReg,@function
fft_rtc_back_len2016_factors_2_2_2_2_2_3_3_7_wgs_224_tpt_112_halfLds_sp_op_CI_CI_unitstride_sbrr_R2C_dirReg: ; @fft_rtc_back_len2016_factors_2_2_2_2_2_3_3_7_wgs_224_tpt_112_halfLds_sp_op_CI_CI_unitstride_sbrr_R2C_dirReg
; %bb.0:
	s_load_dwordx4 s[8:11], s[4:5], 0x58
	s_load_dwordx4 s[12:15], s[4:5], 0x0
	;; [unrolled: 1-line block ×3, first 2 shown]
	v_mul_u32_u24_e32 v1, 0x24a, v0
	v_lshrrev_b32_e32 v7, 16, v1
	v_mov_b32_e32 v3, 0
	s_waitcnt lgkmcnt(0)
	v_cmp_lt_u64_e64 s[0:1], s[14:15], 2
	v_mov_b32_e32 v1, 0
	v_lshl_add_u32 v5, s6, 1, v7
	v_mov_b32_e32 v6, v3
	s_and_b64 vcc, exec, s[0:1]
	v_mov_b32_e32 v2, 0
	s_cbranch_vccnz .LBB0_8
; %bb.1:
	s_load_dwordx2 s[0:1], s[4:5], 0x10
	s_add_u32 s2, s18, 8
	s_addc_u32 s3, s19, 0
	s_add_u32 s6, s16, 8
	v_mov_b32_e32 v1, 0
	s_addc_u32 s7, s17, 0
	v_mov_b32_e32 v2, 0
	s_waitcnt lgkmcnt(0)
	s_add_u32 s20, s0, 8
	v_mov_b32_e32 v25, v2
	s_addc_u32 s21, s1, 0
	s_mov_b64 s[22:23], 1
	v_mov_b32_e32 v24, v1
.LBB0_2:                                ; =>This Inner Loop Header: Depth=1
	s_load_dwordx2 s[24:25], s[20:21], 0x0
                                        ; implicit-def: $vgpr28_vgpr29
	s_waitcnt lgkmcnt(0)
	v_or_b32_e32 v4, s25, v6
	v_cmp_ne_u64_e32 vcc, 0, v[3:4]
	s_and_saveexec_b64 s[0:1], vcc
	s_xor_b64 s[26:27], exec, s[0:1]
	s_cbranch_execz .LBB0_4
; %bb.3:                                ;   in Loop: Header=BB0_2 Depth=1
	v_cvt_f32_u32_e32 v4, s24
	v_cvt_f32_u32_e32 v8, s25
	s_sub_u32 s0, 0, s24
	s_subb_u32 s1, 0, s25
	v_mac_f32_e32 v4, 0x4f800000, v8
	v_rcp_f32_e32 v4, v4
	v_mul_f32_e32 v4, 0x5f7ffffc, v4
	v_mul_f32_e32 v8, 0x2f800000, v4
	v_trunc_f32_e32 v8, v8
	v_mac_f32_e32 v4, 0xcf800000, v8
	v_cvt_u32_f32_e32 v8, v8
	v_cvt_u32_f32_e32 v4, v4
	v_mul_lo_u32 v9, s0, v8
	v_mul_hi_u32 v10, s0, v4
	v_mul_lo_u32 v12, s1, v4
	v_mul_lo_u32 v11, s0, v4
	v_add_u32_e32 v9, v10, v9
	v_add_u32_e32 v9, v9, v12
	v_mul_hi_u32 v10, v4, v11
	v_mul_lo_u32 v12, v4, v9
	v_mul_hi_u32 v14, v4, v9
	v_mul_hi_u32 v13, v8, v11
	v_mul_lo_u32 v11, v8, v11
	v_mul_hi_u32 v15, v8, v9
	v_add_co_u32_e32 v10, vcc, v10, v12
	v_addc_co_u32_e32 v12, vcc, 0, v14, vcc
	v_mul_lo_u32 v9, v8, v9
	v_add_co_u32_e32 v10, vcc, v10, v11
	v_addc_co_u32_e32 v10, vcc, v12, v13, vcc
	v_addc_co_u32_e32 v11, vcc, 0, v15, vcc
	v_add_co_u32_e32 v9, vcc, v10, v9
	v_addc_co_u32_e32 v10, vcc, 0, v11, vcc
	v_add_co_u32_e32 v4, vcc, v4, v9
	v_addc_co_u32_e32 v8, vcc, v8, v10, vcc
	v_mul_lo_u32 v9, s0, v8
	v_mul_hi_u32 v10, s0, v4
	v_mul_lo_u32 v11, s1, v4
	v_mul_lo_u32 v12, s0, v4
	v_add_u32_e32 v9, v10, v9
	v_add_u32_e32 v9, v9, v11
	v_mul_lo_u32 v13, v4, v9
	v_mul_hi_u32 v14, v4, v12
	v_mul_hi_u32 v15, v4, v9
	;; [unrolled: 1-line block ×3, first 2 shown]
	v_mul_lo_u32 v12, v8, v12
	v_mul_hi_u32 v10, v8, v9
	v_add_co_u32_e32 v13, vcc, v14, v13
	v_addc_co_u32_e32 v14, vcc, 0, v15, vcc
	v_mul_lo_u32 v9, v8, v9
	v_add_co_u32_e32 v12, vcc, v13, v12
	v_addc_co_u32_e32 v11, vcc, v14, v11, vcc
	v_addc_co_u32_e32 v10, vcc, 0, v10, vcc
	v_add_co_u32_e32 v9, vcc, v11, v9
	v_addc_co_u32_e32 v10, vcc, 0, v10, vcc
	v_add_co_u32_e32 v4, vcc, v4, v9
	v_addc_co_u32_e32 v10, vcc, v8, v10, vcc
	v_mad_u64_u32 v[8:9], s[0:1], v5, v10, 0
	v_mul_hi_u32 v11, v5, v4
	v_add_co_u32_e32 v12, vcc, v11, v8
	v_addc_co_u32_e32 v13, vcc, 0, v9, vcc
	v_mad_u64_u32 v[8:9], s[0:1], v6, v4, 0
	v_mad_u64_u32 v[10:11], s[0:1], v6, v10, 0
	v_add_co_u32_e32 v4, vcc, v12, v8
	v_addc_co_u32_e32 v4, vcc, v13, v9, vcc
	v_addc_co_u32_e32 v8, vcc, 0, v11, vcc
	v_add_co_u32_e32 v4, vcc, v4, v10
	v_addc_co_u32_e32 v10, vcc, 0, v8, vcc
	v_mul_lo_u32 v11, s25, v4
	v_mul_lo_u32 v12, s24, v10
	v_mad_u64_u32 v[8:9], s[0:1], s24, v4, 0
	v_add3_u32 v9, v9, v12, v11
	v_sub_u32_e32 v11, v6, v9
	v_mov_b32_e32 v12, s25
	v_sub_co_u32_e32 v8, vcc, v5, v8
	v_subb_co_u32_e64 v11, s[0:1], v11, v12, vcc
	v_subrev_co_u32_e64 v12, s[0:1], s24, v8
	v_subbrev_co_u32_e64 v11, s[0:1], 0, v11, s[0:1]
	v_cmp_le_u32_e64 s[0:1], s25, v11
	v_cndmask_b32_e64 v13, 0, -1, s[0:1]
	v_cmp_le_u32_e64 s[0:1], s24, v12
	v_cndmask_b32_e64 v12, 0, -1, s[0:1]
	v_cmp_eq_u32_e64 s[0:1], s25, v11
	v_cndmask_b32_e64 v11, v13, v12, s[0:1]
	v_add_co_u32_e64 v12, s[0:1], 2, v4
	v_addc_co_u32_e64 v13, s[0:1], 0, v10, s[0:1]
	v_add_co_u32_e64 v14, s[0:1], 1, v4
	v_addc_co_u32_e64 v15, s[0:1], 0, v10, s[0:1]
	v_subb_co_u32_e32 v9, vcc, v6, v9, vcc
	v_cmp_ne_u32_e64 s[0:1], 0, v11
	v_cmp_le_u32_e32 vcc, s25, v9
	v_cndmask_b32_e64 v11, v15, v13, s[0:1]
	v_cndmask_b32_e64 v13, 0, -1, vcc
	v_cmp_le_u32_e32 vcc, s24, v8
	v_cndmask_b32_e64 v8, 0, -1, vcc
	v_cmp_eq_u32_e32 vcc, s25, v9
	v_cndmask_b32_e32 v8, v13, v8, vcc
	v_cmp_ne_u32_e32 vcc, 0, v8
	v_cndmask_b32_e64 v8, v14, v12, s[0:1]
	v_cndmask_b32_e32 v29, v10, v11, vcc
	v_cndmask_b32_e32 v28, v4, v8, vcc
.LBB0_4:                                ;   in Loop: Header=BB0_2 Depth=1
	s_andn2_saveexec_b64 s[0:1], s[26:27]
	s_cbranch_execz .LBB0_6
; %bb.5:                                ;   in Loop: Header=BB0_2 Depth=1
	v_cvt_f32_u32_e32 v4, s24
	s_sub_i32 s26, 0, s24
	v_mov_b32_e32 v29, v3
	v_rcp_iflag_f32_e32 v4, v4
	v_mul_f32_e32 v4, 0x4f7ffffe, v4
	v_cvt_u32_f32_e32 v4, v4
	v_mul_lo_u32 v8, s26, v4
	v_mul_hi_u32 v8, v4, v8
	v_add_u32_e32 v4, v4, v8
	v_mul_hi_u32 v4, v5, v4
	v_mul_lo_u32 v8, v4, s24
	v_add_u32_e32 v9, 1, v4
	v_sub_u32_e32 v8, v5, v8
	v_subrev_u32_e32 v10, s24, v8
	v_cmp_le_u32_e32 vcc, s24, v8
	v_cndmask_b32_e32 v8, v8, v10, vcc
	v_cndmask_b32_e32 v4, v4, v9, vcc
	v_add_u32_e32 v9, 1, v4
	v_cmp_le_u32_e32 vcc, s24, v8
	v_cndmask_b32_e32 v28, v4, v9, vcc
.LBB0_6:                                ;   in Loop: Header=BB0_2 Depth=1
	s_or_b64 exec, exec, s[0:1]
	v_mul_lo_u32 v4, v29, s24
	v_mul_lo_u32 v10, v28, s25
	v_mad_u64_u32 v[8:9], s[0:1], v28, s24, 0
	s_load_dwordx2 s[0:1], s[6:7], 0x0
	s_load_dwordx2 s[24:25], s[2:3], 0x0
	v_add3_u32 v4, v9, v10, v4
	v_sub_co_u32_e32 v5, vcc, v5, v8
	v_subb_co_u32_e32 v4, vcc, v6, v4, vcc
	s_waitcnt lgkmcnt(0)
	v_mul_lo_u32 v6, s0, v4
	v_mul_lo_u32 v8, s1, v5
	v_mad_u64_u32 v[1:2], s[0:1], s0, v5, v[1:2]
	v_mul_lo_u32 v4, s24, v4
	v_mul_lo_u32 v9, s25, v5
	v_mad_u64_u32 v[24:25], s[0:1], s24, v5, v[24:25]
	s_add_u32 s22, s22, 1
	s_addc_u32 s23, s23, 0
	s_add_u32 s2, s2, 8
	v_add3_u32 v25, v9, v25, v4
	s_addc_u32 s3, s3, 0
	v_mov_b32_e32 v4, s14
	s_add_u32 s6, s6, 8
	v_mov_b32_e32 v5, s15
	s_addc_u32 s7, s7, 0
	v_cmp_ge_u64_e32 vcc, s[22:23], v[4:5]
	s_add_u32 s20, s20, 8
	v_add3_u32 v2, v8, v2, v6
	s_addc_u32 s21, s21, 0
	s_cbranch_vccnz .LBB0_9
; %bb.7:                                ;   in Loop: Header=BB0_2 Depth=1
	v_mov_b32_e32 v5, v28
	v_mov_b32_e32 v6, v29
	s_branch .LBB0_2
.LBB0_8:
	v_mov_b32_e32 v25, v2
	v_mov_b32_e32 v29, v6
	;; [unrolled: 1-line block ×4, first 2 shown]
.LBB0_9:
	s_load_dwordx2 s[2:3], s[4:5], 0x28
	s_lshl_b64 s[6:7], s[14:15], 3
	s_add_u32 s4, s18, s6
	v_and_b32_e32 v3, 1, v7
	s_addc_u32 s5, s19, s7
	s_waitcnt lgkmcnt(0)
	v_cmp_gt_u64_e64 s[0:1], s[2:3], v[28:29]
	v_cmp_le_u64_e64 s[2:3], s[2:3], v[28:29]
	v_cmp_eq_u32_e32 vcc, 1, v3
	v_mov_b32_e32 v3, 0x7e1
                                        ; implicit-def: $vgpr26
                                        ; implicit-def: $vgpr30
                                        ; implicit-def: $vgpr42
                                        ; implicit-def: $vgpr41
                                        ; implicit-def: $vgpr40
                                        ; implicit-def: $vgpr38
                                        ; implicit-def: $vgpr36
                                        ; implicit-def: $vgpr34
                                        ; implicit-def: $vgpr32
	s_and_saveexec_b64 s[14:15], s[2:3]
	s_xor_b64 s[2:3], exec, s[14:15]
	s_cbranch_execz .LBB0_11
; %bb.10:
	s_mov_b32 s14, 0x2492493
	v_mul_hi_u32 v1, v0, s14
	v_mul_u32_u24_e32 v1, 0x70, v1
	v_sub_u32_e32 v26, v0, v1
	v_add_u32_e32 v30, 0x70, v26
	v_add_u32_e32 v42, 0xe0, v26
	;; [unrolled: 1-line block ×7, first 2 shown]
	v_or_b32_e32 v32, 0x380, v26
                                        ; implicit-def: $vgpr0
                                        ; implicit-def: $vgpr1_vgpr2
.LBB0_11:
	s_or_saveexec_b64 s[2:3], s[2:3]
	v_cndmask_b32_e32 v3, 0, v3, vcc
	v_lshlrev_b32_e32 v3, 3, v3
	s_xor_b64 exec, exec, s[2:3]
	s_cbranch_execz .LBB0_13
; %bb.12:
	s_add_u32 s6, s16, s6
	s_addc_u32 s7, s17, s7
	s_load_dwordx2 s[6:7], s[6:7], 0x0
	s_mov_b32 s14, 0x2492493
	v_mul_hi_u32 v6, v0, s14
	s_waitcnt lgkmcnt(0)
	v_mul_lo_u32 v7, s7, v28
	v_mul_lo_u32 v8, s6, v29
	v_mad_u64_u32 v[4:5], s[6:7], s6, v28, 0
	v_mul_u32_u24_e32 v6, 0x70, v6
	v_sub_u32_e32 v26, v0, v6
	v_add3_u32 v5, v5, v8, v7
	v_lshlrev_b64 v[4:5], 3, v[4:5]
	v_mov_b32_e32 v0, s9
	v_add_co_u32_e32 v4, vcc, s8, v4
	v_addc_co_u32_e32 v5, vcc, v0, v5, vcc
	v_lshlrev_b64 v[0:1], 3, v[1:2]
	v_lshlrev_b32_e32 v31, 3, v26
	v_add_co_u32_e32 v2, vcc, v4, v0
	v_addc_co_u32_e32 v27, vcc, v5, v1, vcc
	v_add_co_u32_e32 v0, vcc, v2, v31
	v_addc_co_u32_e32 v1, vcc, 0, v27, vcc
	s_movk_i32 s6, 0x1000
	v_add_co_u32_e32 v6, vcc, s6, v0
	v_or_b32_e32 v32, 0x380, v26
	v_addc_co_u32_e32 v7, vcc, 0, v1, vcc
	v_lshlrev_b32_e32 v16, 3, v32
	v_add_co_u32_e32 v16, vcc, v2, v16
	s_movk_i32 s6, 0x2000
	v_addc_co_u32_e32 v17, vcc, 0, v27, vcc
	v_add_co_u32_e32 v18, vcc, s6, v0
	v_addc_co_u32_e32 v19, vcc, 0, v1, vcc
	s_movk_i32 s6, 0x3000
	global_load_dwordx2 v[4:5], v[0:1], off offset:2688
	global_load_dwordx2 v[8:9], v[0:1], off offset:3584
	;; [unrolled: 1-line block ×7, first 2 shown]
	global_load_dwordx2 v[33:34], v[16:17], off
	global_load_dwordx2 v[43:44], v[6:7], off offset:3968
	v_add_co_u32_e32 v6, vcc, s6, v0
	v_addc_co_u32_e32 v7, vcc, 0, v1, vcc
	global_load_dwordx2 v[16:17], v[18:19], off offset:2560
	global_load_dwordx2 v[45:46], v[18:19], off offset:3456
	;; [unrolled: 1-line block ×4, first 2 shown]
	global_load_dwordx2 v[51:52], v[0:1], off
	global_load_dwordx2 v[53:54], v[0:1], off offset:1792
	global_load_dwordx2 v[55:56], v[0:1], off offset:896
	v_or_b32_e32 v0, 0x3800, v31
	v_add_co_u32_e32 v0, vcc, v2, v0
	v_addc_co_u32_e32 v1, vcc, 0, v27, vcc
	global_load_dwordx2 v[18:19], v[0:1], off
	global_load_dwordx2 v[57:58], v[6:7], off offset:2944
	v_add3_u32 v0, 0, v3, v31
	v_add_u32_e32 v1, 0x400, v0
	v_add_u32_e32 v30, 0x70, v26
	;; [unrolled: 1-line block ×14, first 2 shown]
	s_waitcnt vmcnt(3)
	ds_write2_b64 v1, v[53:54], v[4:5] offset0:96 offset1:208
	s_waitcnt vmcnt(2)
	ds_write2_b64 v0, v[51:52], v[55:56] offset1:112
	ds_write2_b64 v2, v[8:9], v[10:11] offset0:64 offset1:176
	ds_write2_b64 v6, v[12:13], v[14:15] offset0:32 offset1:144
	;; [unrolled: 1-line block ×6, first 2 shown]
	s_waitcnt vmcnt(0)
	ds_write2_b64 v37, v[18:19], v[57:58] offset1:112
	v_add_u32_e32 v34, 0x310, v26
.LBB0_13:
	s_or_b64 exec, exec, s[2:3]
	v_lshlrev_b32_e32 v27, 3, v26
	v_add3_u32 v31, 0, v27, v3
	v_add_u32_e32 v63, 0, v3
	v_add_u32_e32 v8, 0x1c00, v31
	s_load_dwordx2 s[4:5], s[4:5], 0x0
	s_waitcnt lgkmcnt(0)
	s_barrier
	v_add_u32_e32 v33, v63, v27
	ds_read2_b64 v[9:12], v8 offset0:112 offset1:224
	ds_read_b64 v[0:1], v33
	ds_read_b64 v[21:22], v31 offset:15232
	v_lshl_add_u32 v7, v26, 4, v63
	v_add_u32_e32 v6, 0x2400, v31
	v_add_u32_e32 v2, 0x800, v31
	s_waitcnt lgkmcnt(1)
	v_sub_f32_e32 v9, v0, v9
	v_sub_f32_e32 v10, v1, v10
	v_fma_f32 v64, v0, 2.0, -v9
	v_fma_f32 v65, v1, 2.0, -v10
	v_add_u32_e32 v0, 0x2c00, v31
	v_add_u32_e32 v4, 0x1000, v31
	;; [unrolled: 1-line block ×4, first 2 shown]
	ds_read2_b64 v[13:16], v31 offset0:112 offset1:224
	ds_read2_b64 v[17:20], v6 offset0:80 offset1:192
	;; [unrolled: 1-line block ×7, first 2 shown]
	s_waitcnt lgkmcnt(0)
	s_barrier
	ds_write2_b64 v7, v[64:65], v[9:10] offset1:1
	v_sub_f32_e32 v9, v13, v11
	v_sub_f32_e32 v10, v14, v12
	v_fma_f32 v11, v13, 2.0, -v9
	v_fma_f32 v12, v14, 2.0, -v10
	v_lshl_add_u32 v7, v30, 4, v63
	ds_write2_b64 v7, v[11:12], v[9:10] offset1:1
	v_sub_f32_e32 v9, v15, v17
	v_sub_f32_e32 v10, v16, v18
	v_fma_f32 v11, v15, 2.0, -v9
	v_fma_f32 v12, v16, 2.0, -v10
	v_lshl_add_u32 v7, v42, 4, v63
	;; [unrolled: 6-line block ×3, first 2 shown]
	ds_write2_b64 v7, v[11:12], v[9:10] offset1:1
	v_sub_f32_e32 v9, v45, v47
	v_sub_f32_e32 v10, v46, v48
	v_fma_f32 v11, v45, 2.0, -v9
	v_fma_f32 v12, v46, 2.0, -v10
	v_sub_f32_e32 v13, v51, v49
	v_sub_f32_e32 v14, v52, v50
	v_lshl_add_u32 v7, v40, 4, v63
	v_fma_f32 v15, v51, 2.0, -v13
	v_fma_f32 v16, v52, 2.0, -v14
	v_sub_f32_e32 v17, v53, v55
	v_sub_f32_e32 v18, v54, v56
	ds_write2_b64 v7, v[11:12], v[9:10] offset1:1
	v_lshl_add_u32 v11, v38, 4, v63
	v_fma_f32 v19, v53, 2.0, -v17
	v_fma_f32 v20, v54, 2.0, -v18
	v_sub_f32_e32 v43, v59, v57
	v_sub_f32_e32 v44, v60, v58
	;; [unrolled: 1-line block ×4, first 2 shown]
	ds_write2_b64 v11, v[15:16], v[13:14] offset1:1
	v_lshl_add_u32 v16, v36, 4, v63
	v_and_b32_e32 v37, 1, v26
	v_fma_f32 v45, v59, 2.0, -v43
	v_fma_f32 v46, v60, 2.0, -v44
	v_fma_f32 v47, v61, 2.0, -v21
	v_fma_f32 v48, v62, 2.0, -v22
	ds_write2_b64 v16, v[19:20], v[17:18] offset1:1
	v_lshl_add_u32 v17, v34, 4, v63
	v_lshl_add_u32 v18, v32, 4, v63
	v_lshlrev_b32_e32 v9, 3, v37
	ds_write2_b64 v17, v[45:46], v[43:44] offset1:1
	ds_write2_b64 v18, v[47:48], v[21:22] offset1:1
	s_waitcnt lgkmcnt(0)
	s_barrier
	global_load_dwordx2 v[47:48], v9, s[12:13]
	ds_read2_b64 v[12:15], v8 offset0:112 offset1:224
	v_lshl_add_u32 v35, v42, 3, v63
	s_movk_i32 s2, 0xfc
	v_lshl_add_u32 v65, v30, 3, v63
	v_lshl_add_u32 v64, v41, 3, v63
	s_movk_i32 s3, 0x5fc
	s_movk_i32 s6, 0xab
	s_waitcnt vmcnt(0) lgkmcnt(0)
	v_mul_f32_e32 v19, v48, v13
	v_mul_f32_e32 v9, v48, v12
	v_fmac_f32_e32 v19, v47, v12
	v_fma_f32 v12, v47, v13, -v9
	ds_read_b64 v[9:10], v33
	ds_read_b64 v[49:50], v31 offset:15232
	v_lshlrev_b32_e32 v13, 1, v26
	ds_read_b64 v[51:52], v35
	ds_read_b64 v[53:54], v65
	v_and_or_b32 v39, v13, s2, v37
	s_waitcnt lgkmcnt(3)
	v_sub_f32_e32 v55, v9, v19
	v_fma_f32 v57, v9, 2.0, -v55
	v_lshlrev_b32_e32 v9, 3, v40
	v_sub_f32_e32 v56, v10, v12
	v_sub_u32_e32 v7, v7, v9
	v_lshlrev_b32_e32 v9, 3, v38
	v_fma_f32 v58, v10, 2.0, -v56
	v_sub_u32_e32 v9, v11, v9
	v_lshlrev_b32_e32 v10, 3, v36
	v_lshlrev_b32_e32 v11, 3, v34
	;; [unrolled: 1-line block ×3, first 2 shown]
	v_lshl_add_u32 v39, v39, 3, v63
	v_sub_u32_e32 v10, v16, v10
	v_sub_u32_e32 v11, v17, v11
	;; [unrolled: 1-line block ×3, first 2 shown]
	ds_read_b64 v[59:60], v64
	ds_read_b64 v[61:62], v7
	;; [unrolled: 1-line block ×6, first 2 shown]
	ds_read2_b64 v[16:19], v6 offset0:80 offset1:192
	ds_read2_b64 v[20:23], v0 offset0:48 offset1:160
	;; [unrolled: 1-line block ×3, first 2 shown]
	s_waitcnt lgkmcnt(0)
	s_barrier
	ds_write2_b64 v39, v[57:58], v[55:56] offset1:2
	v_mul_f32_e32 v39, v48, v15
	v_fmac_f32_e32 v39, v47, v14
	v_mul_f32_e32 v14, v48, v14
	v_fma_f32 v14, v47, v15, -v14
	v_sub_f32_e32 v56, v54, v14
	s_movk_i32 s2, 0x1fc
	v_lshlrev_b32_e32 v14, 1, v30
	v_sub_f32_e32 v55, v53, v39
	v_and_or_b32 v15, v14, s2, v37
	v_fma_f32 v53, v53, 2.0, -v55
	v_fma_f32 v54, v54, 2.0, -v56
	v_lshl_add_u32 v15, v15, 3, v63
	ds_write2_b64 v15, v[53:54], v[55:56] offset1:2
	v_mul_f32_e32 v15, v48, v17
	v_fmac_f32_e32 v15, v47, v16
	v_mul_f32_e32 v16, v48, v16
	v_fma_f32 v17, v47, v17, -v16
	v_sub_f32_e32 v16, v51, v15
	s_movk_i32 s2, 0x3fc
	v_lshlrev_b32_e32 v15, 1, v42
	v_sub_f32_e32 v17, v52, v17
	v_and_or_b32 v39, v15, s2, v37
	v_fma_f32 v51, v51, 2.0, -v16
	v_fma_f32 v52, v52, 2.0, -v17
	v_lshl_add_u32 v39, v39, 3, v63
	ds_write2_b64 v39, v[51:52], v[16:17] offset1:2
	v_mul_f32_e32 v16, v48, v19
	v_fmac_f32_e32 v16, v47, v18
	v_mul_f32_e32 v17, v48, v18
	v_fma_f32 v18, v47, v19, -v17
	v_sub_f32_e32 v17, v59, v16
	v_lshlrev_b32_e32 v16, 1, v41
	v_sub_f32_e32 v18, v60, v18
	v_and_or_b32 v19, v16, s2, v37
	v_fma_f32 v51, v59, 2.0, -v17
	v_fma_f32 v52, v60, 2.0, -v18
	v_lshl_add_u32 v19, v19, 3, v63
	ds_write2_b64 v19, v[51:52], v[17:18] offset1:2
	v_mul_f32_e32 v17, v48, v21
	v_fmac_f32_e32 v17, v47, v20
	v_mul_f32_e32 v18, v48, v20
	v_fma_f32 v19, v47, v21, -v18
	v_sub_f32_e32 v18, v61, v17
	s_movk_i32 s2, 0x7fc
	v_lshlrev_b32_e32 v17, 1, v40
	v_sub_f32_e32 v19, v62, v19
	v_and_or_b32 v39, v17, s2, v37
	v_fma_f32 v20, v61, 2.0, -v18
	v_fma_f32 v21, v62, 2.0, -v19
	v_lshl_add_u32 v39, v39, 3, v63
	ds_write2_b64 v39, v[20:21], v[18:19] offset1:2
	v_mul_f32_e32 v18, v48, v23
	v_fmac_f32_e32 v18, v47, v22
	v_mul_f32_e32 v19, v48, v22
	v_fma_f32 v20, v47, v23, -v19
	v_sub_f32_e32 v19, v66, v18
	v_lshlrev_b32_e32 v18, 1, v38
	v_sub_f32_e32 v20, v67, v20
	v_and_or_b32 v23, v18, s3, v37
	v_fma_f32 v21, v66, 2.0, -v19
	v_fma_f32 v22, v67, 2.0, -v20
	v_lshl_add_u32 v23, v23, 3, v63
	ds_write2_b64 v23, v[21:22], v[19:20] offset1:2
	v_mul_f32_e32 v19, v44, v48
	v_fmac_f32_e32 v19, v43, v47
	v_mul_f32_e32 v20, v43, v48
	v_fma_f32 v21, v44, v47, -v20
	v_sub_f32_e32 v20, v68, v19
	;; [unrolled: 12-line block ×4, first 2 shown]
	v_lshlrev_b32_e32 v21, 1, v32
	v_sub_f32_e32 v23, v73, v23
	v_and_or_b32 v37, v21, s2, v37
	v_fma_f32 v43, v72, 2.0, -v22
	v_fma_f32 v44, v73, 2.0, -v23
	v_lshl_add_u32 v37, v37, 3, v63
	ds_write2_b64 v37, v[43:44], v[22:23] offset1:2
	v_and_b32_e32 v37, 3, v26
	v_lshlrev_b32_e32 v22, 3, v37
	s_waitcnt lgkmcnt(0)
	s_barrier
	global_load_dwordx2 v[22:23], v22, s[12:13] offset:16
	ds_read2_b64 v[43:46], v8 offset0:112 offset1:224
	ds_read_b64 v[47:48], v33
	s_movk_i32 s2, 0xf8
	s_movk_i32 s3, 0x5f8
	s_waitcnt vmcnt(0) lgkmcnt(1)
	v_mul_f32_e32 v39, v23, v44
	v_fmac_f32_e32 v39, v22, v43
	v_mul_f32_e32 v43, v23, v43
	v_fma_f32 v49, v22, v44, -v43
	ds_read_b64 v[43:44], v31 offset:15232
	ds_read_b64 v[59:60], v35
	ds_read_b64 v[61:62], v65
	s_waitcnt lgkmcnt(3)
	v_sub_f32_e32 v66, v47, v39
	v_sub_f32_e32 v67, v48, v49
	v_and_or_b32 v39, v13, s2, v37
	v_fma_f32 v68, v47, 2.0, -v66
	v_fma_f32 v69, v48, 2.0, -v67
	v_lshl_add_u32 v39, v39, 3, v63
	ds_read_b64 v[70:71], v64
	ds_read_b64 v[72:73], v7
	;; [unrolled: 1-line block ×6, first 2 shown]
	ds_read2_b64 v[47:50], v6 offset0:80 offset1:192
	ds_read2_b64 v[51:54], v0 offset0:48 offset1:160
	;; [unrolled: 1-line block ×3, first 2 shown]
	s_waitcnt lgkmcnt(0)
	s_barrier
	ds_write2_b64 v39, v[68:69], v[66:67] offset1:4
	v_mul_f32_e32 v39, v23, v46
	v_fmac_f32_e32 v39, v22, v45
	v_mul_f32_e32 v45, v23, v45
	v_fma_f32 v46, v22, v46, -v45
	s_movk_i32 s2, 0x1f8
	v_sub_f32_e32 v45, v61, v39
	v_sub_f32_e32 v46, v62, v46
	v_and_or_b32 v39, v14, s2, v37
	v_fma_f32 v61, v61, 2.0, -v45
	v_fma_f32 v62, v62, 2.0, -v46
	v_lshl_add_u32 v39, v39, 3, v63
	ds_write2_b64 v39, v[61:62], v[45:46] offset1:4
	v_mul_f32_e32 v39, v23, v48
	v_mul_f32_e32 v45, v23, v47
	v_fmac_f32_e32 v39, v22, v47
	v_fma_f32 v46, v22, v48, -v45
	s_movk_i32 s2, 0x3f8
	v_sub_f32_e32 v45, v59, v39
	v_sub_f32_e32 v46, v60, v46
	v_and_or_b32 v39, v15, s2, v37
	v_fma_f32 v47, v59, 2.0, -v45
	v_fma_f32 v48, v60, 2.0, -v46
	v_lshl_add_u32 v39, v39, 3, v63
	ds_write2_b64 v39, v[47:48], v[45:46] offset1:4
	v_mul_f32_e32 v39, v23, v50
	v_mul_f32_e32 v45, v23, v49
	v_fmac_f32_e32 v39, v22, v49
	v_fma_f32 v46, v22, v50, -v45
	v_sub_f32_e32 v45, v70, v39
	v_sub_f32_e32 v46, v71, v46
	v_and_or_b32 v39, v16, s2, v37
	v_fma_f32 v47, v70, 2.0, -v45
	v_fma_f32 v48, v71, 2.0, -v46
	v_lshl_add_u32 v39, v39, 3, v63
	ds_write2_b64 v39, v[47:48], v[45:46] offset1:4
	v_mul_f32_e32 v39, v23, v52
	v_mul_f32_e32 v45, v23, v51
	v_fmac_f32_e32 v39, v22, v51
	v_fma_f32 v46, v22, v52, -v45
	s_movk_i32 s2, 0x7f8
	v_sub_f32_e32 v45, v72, v39
	v_sub_f32_e32 v46, v73, v46
	v_and_or_b32 v39, v17, s2, v37
	v_fma_f32 v47, v72, 2.0, -v45
	v_fma_f32 v48, v73, 2.0, -v46
	v_lshl_add_u32 v39, v39, 3, v63
	ds_write2_b64 v39, v[47:48], v[45:46] offset1:4
	v_mul_f32_e32 v39, v23, v54
	v_mul_f32_e32 v45, v23, v53
	v_fmac_f32_e32 v39, v22, v53
	v_fma_f32 v46, v22, v54, -v45
	v_sub_f32_e32 v45, v74, v39
	v_sub_f32_e32 v46, v75, v46
	v_and_or_b32 v39, v18, s3, v37
	v_fma_f32 v47, v74, 2.0, -v45
	v_fma_f32 v48, v75, 2.0, -v46
	v_lshl_add_u32 v39, v39, 3, v63
	ds_write2_b64 v39, v[47:48], v[45:46] offset1:4
	v_mul_f32_e32 v39, v23, v56
	v_mul_f32_e32 v45, v23, v55
	v_fmac_f32_e32 v39, v22, v55
	v_fma_f32 v46, v22, v56, -v45
	;; [unrolled: 11-line block ×4, first 2 shown]
	v_sub_f32_e32 v22, v80, v39
	v_sub_f32_e32 v23, v81, v23
	v_and_or_b32 v37, v21, s2, v37
	v_fma_f32 v43, v80, 2.0, -v22
	v_fma_f32 v44, v81, 2.0, -v23
	v_lshl_add_u32 v37, v37, 3, v63
	ds_write2_b64 v37, v[43:44], v[22:23] offset1:4
	v_and_b32_e32 v37, 7, v26
	v_lshlrev_b32_e32 v22, 3, v37
	s_waitcnt lgkmcnt(0)
	s_barrier
	global_load_dwordx2 v[22:23], v22, s[12:13] offset:48
	ds_read2_b64 v[43:46], v8 offset0:112 offset1:224
	ds_read_b64 v[47:48], v33
	s_movk_i32 s2, 0xf0
	s_movk_i32 s3, 0x5f0
	s_waitcnt vmcnt(0) lgkmcnt(1)
	v_mul_f32_e32 v39, v23, v44
	v_fmac_f32_e32 v39, v22, v43
	v_mul_f32_e32 v43, v23, v43
	v_fma_f32 v49, v22, v44, -v43
	ds_read_b64 v[43:44], v31 offset:15232
	ds_read_b64 v[59:60], v35
	ds_read_b64 v[61:62], v65
	s_waitcnt lgkmcnt(3)
	v_sub_f32_e32 v66, v47, v39
	v_sub_f32_e32 v67, v48, v49
	v_and_or_b32 v39, v13, s2, v37
	v_fma_f32 v68, v47, 2.0, -v66
	v_fma_f32 v69, v48, 2.0, -v67
	v_lshl_add_u32 v39, v39, 3, v63
	ds_read_b64 v[70:71], v64
	ds_read_b64 v[72:73], v7
	;; [unrolled: 1-line block ×6, first 2 shown]
	ds_read2_b64 v[47:50], v6 offset0:80 offset1:192
	ds_read2_b64 v[51:54], v0 offset0:48 offset1:160
	ds_read2_b64 v[55:58], v1 offset0:16 offset1:128
	s_waitcnt lgkmcnt(0)
	s_barrier
	ds_write2_b64 v39, v[68:69], v[66:67] offset1:8
	v_mul_f32_e32 v39, v23, v46
	v_fmac_f32_e32 v39, v22, v45
	v_mul_f32_e32 v45, v23, v45
	v_fma_f32 v46, v22, v46, -v45
	s_movk_i32 s2, 0x1f0
	v_sub_f32_e32 v45, v61, v39
	v_sub_f32_e32 v46, v62, v46
	v_and_or_b32 v39, v14, s2, v37
	v_fma_f32 v61, v61, 2.0, -v45
	v_fma_f32 v62, v62, 2.0, -v46
	v_lshl_add_u32 v39, v39, 3, v63
	ds_write2_b64 v39, v[61:62], v[45:46] offset1:8
	v_mul_f32_e32 v39, v23, v48
	v_mul_f32_e32 v45, v23, v47
	v_fmac_f32_e32 v39, v22, v47
	v_fma_f32 v46, v22, v48, -v45
	s_movk_i32 s2, 0x3f0
	v_sub_f32_e32 v45, v59, v39
	v_sub_f32_e32 v46, v60, v46
	v_and_or_b32 v39, v15, s2, v37
	v_fma_f32 v47, v59, 2.0, -v45
	v_fma_f32 v48, v60, 2.0, -v46
	v_lshl_add_u32 v39, v39, 3, v63
	ds_write2_b64 v39, v[47:48], v[45:46] offset1:8
	v_mul_f32_e32 v39, v23, v50
	v_mul_f32_e32 v45, v23, v49
	v_fmac_f32_e32 v39, v22, v49
	v_fma_f32 v46, v22, v50, -v45
	v_sub_f32_e32 v45, v70, v39
	v_sub_f32_e32 v46, v71, v46
	v_and_or_b32 v39, v16, s2, v37
	v_fma_f32 v47, v70, 2.0, -v45
	v_fma_f32 v48, v71, 2.0, -v46
	v_lshl_add_u32 v39, v39, 3, v63
	ds_write2_b64 v39, v[47:48], v[45:46] offset1:8
	v_mul_f32_e32 v39, v23, v52
	v_mul_f32_e32 v45, v23, v51
	v_fmac_f32_e32 v39, v22, v51
	v_fma_f32 v46, v22, v52, -v45
	s_movk_i32 s2, 0x7f0
	v_sub_f32_e32 v45, v72, v39
	v_sub_f32_e32 v46, v73, v46
	v_and_or_b32 v39, v17, s2, v37
	v_fma_f32 v47, v72, 2.0, -v45
	v_fma_f32 v48, v73, 2.0, -v46
	v_lshl_add_u32 v39, v39, 3, v63
	ds_write2_b64 v39, v[47:48], v[45:46] offset1:8
	v_mul_f32_e32 v39, v23, v54
	v_mul_f32_e32 v45, v23, v53
	v_fmac_f32_e32 v39, v22, v53
	v_fma_f32 v46, v22, v54, -v45
	v_sub_f32_e32 v45, v74, v39
	v_sub_f32_e32 v46, v75, v46
	v_and_or_b32 v39, v18, s3, v37
	v_fma_f32 v47, v74, 2.0, -v45
	v_fma_f32 v48, v75, 2.0, -v46
	v_lshl_add_u32 v39, v39, 3, v63
	ds_write2_b64 v39, v[47:48], v[45:46] offset1:8
	v_mul_f32_e32 v39, v23, v56
	v_mul_f32_e32 v45, v23, v55
	v_fmac_f32_e32 v39, v22, v55
	v_fma_f32 v46, v22, v56, -v45
	;; [unrolled: 11-line block ×4, first 2 shown]
	v_sub_f32_e32 v22, v80, v39
	v_sub_f32_e32 v23, v81, v23
	v_and_or_b32 v37, v21, s2, v37
	v_fma_f32 v43, v80, 2.0, -v22
	v_fma_f32 v44, v81, 2.0, -v23
	v_lshl_add_u32 v37, v37, 3, v63
	ds_write2_b64 v37, v[43:44], v[22:23] offset1:8
	v_and_b32_e32 v37, 15, v26
	v_lshlrev_b32_e32 v22, 3, v37
	s_waitcnt lgkmcnt(0)
	s_barrier
	global_load_dwordx2 v[22:23], v22, s[12:13] offset:112
	ds_read2_b64 v[43:46], v8 offset0:112 offset1:224
	ds_read_b64 v[47:48], v33
	s_movk_i32 s2, 0xe0
	v_and_or_b32 v13, v13, s2, v37
	v_lshl_add_u32 v13, v13, 3, v63
	s_movk_i32 s2, 0x1e0
	s_movk_i32 s3, 0x5e0
	s_waitcnt vmcnt(0) lgkmcnt(1)
	v_mul_f32_e32 v39, v23, v44
	v_fmac_f32_e32 v39, v22, v43
	v_mul_f32_e32 v43, v23, v43
	v_fma_f32 v49, v22, v44, -v43
	ds_read_b64 v[43:44], v31 offset:15232
	ds_read_b64 v[59:60], v35
	ds_read_b64 v[61:62], v65
	s_waitcnt lgkmcnt(3)
	v_sub_f32_e32 v66, v47, v39
	v_sub_f32_e32 v67, v48, v49
	v_fma_f32 v68, v47, 2.0, -v66
	v_fma_f32 v69, v48, 2.0, -v67
	ds_read_b64 v[70:71], v64
	ds_read_b64 v[72:73], v7
	;; [unrolled: 1-line block ×6, first 2 shown]
	ds_read2_b64 v[47:50], v6 offset0:80 offset1:192
	ds_read2_b64 v[51:54], v0 offset0:48 offset1:160
	;; [unrolled: 1-line block ×3, first 2 shown]
	s_waitcnt lgkmcnt(0)
	s_barrier
	ds_write2_b64 v13, v[68:69], v[66:67] offset1:16
	v_mul_f32_e32 v13, v23, v46
	v_mul_f32_e32 v39, v23, v45
	v_fmac_f32_e32 v13, v22, v45
	v_fma_f32 v39, v22, v46, -v39
	v_sub_f32_e32 v45, v61, v13
	v_sub_f32_e32 v46, v62, v39
	v_and_or_b32 v13, v14, s2, v37
	v_fma_f32 v61, v61, 2.0, -v45
	v_fma_f32 v62, v62, 2.0, -v46
	v_lshl_add_u32 v13, v13, 3, v63
	ds_write2_b64 v13, v[61:62], v[45:46] offset1:16
	v_mul_f32_e32 v13, v23, v48
	v_mul_f32_e32 v14, v23, v47
	v_fmac_f32_e32 v13, v22, v47
	v_fma_f32 v14, v22, v48, -v14
	s_movk_i32 s2, 0x3e0
	v_sub_f32_e32 v13, v59, v13
	v_sub_f32_e32 v14, v60, v14
	v_and_or_b32 v15, v15, s2, v37
	v_fma_f32 v45, v59, 2.0, -v13
	v_fma_f32 v46, v60, 2.0, -v14
	v_lshl_add_u32 v15, v15, 3, v63
	ds_write2_b64 v15, v[45:46], v[13:14] offset1:16
	v_mul_f32_e32 v13, v23, v50
	v_mul_f32_e32 v14, v23, v49
	v_fmac_f32_e32 v13, v22, v49
	v_fma_f32 v14, v22, v50, -v14
	v_sub_f32_e32 v13, v70, v13
	v_sub_f32_e32 v14, v71, v14
	v_and_or_b32 v15, v16, s2, v37
	v_fma_f32 v45, v70, 2.0, -v13
	v_fma_f32 v46, v71, 2.0, -v14
	v_lshl_add_u32 v15, v15, 3, v63
	ds_write2_b64 v15, v[45:46], v[13:14] offset1:16
	v_mul_f32_e32 v13, v23, v52
	v_mul_f32_e32 v14, v23, v51
	v_fmac_f32_e32 v13, v22, v51
	v_fma_f32 v14, v22, v52, -v14
	s_movk_i32 s2, 0x7e0
	v_sub_f32_e32 v13, v72, v13
	v_sub_f32_e32 v14, v73, v14
	v_and_or_b32 v17, v17, s2, v37
	v_fma_f32 v15, v72, 2.0, -v13
	v_fma_f32 v16, v73, 2.0, -v14
	v_lshl_add_u32 v17, v17, 3, v63
	ds_write2_b64 v17, v[15:16], v[13:14] offset1:16
	v_mul_f32_e32 v13, v23, v54
	v_mul_f32_e32 v14, v23, v53
	v_fmac_f32_e32 v13, v22, v53
	v_fma_f32 v14, v22, v54, -v14
	v_sub_f32_e32 v13, v74, v13
	v_sub_f32_e32 v14, v75, v14
	v_and_or_b32 v17, v18, s3, v37
	v_fma_f32 v15, v74, 2.0, -v13
	v_fma_f32 v16, v75, 2.0, -v14
	v_lshl_add_u32 v17, v17, 3, v63
	ds_write2_b64 v17, v[15:16], v[13:14] offset1:16
	v_mul_f32_e32 v13, v23, v56
	v_mul_f32_e32 v14, v23, v55
	v_fmac_f32_e32 v13, v22, v55
	v_fma_f32 v14, v22, v56, -v14
	;; [unrolled: 11-line block ×4, first 2 shown]
	v_sub_f32_e32 v13, v80, v13
	v_sub_f32_e32 v14, v81, v14
	v_and_or_b32 v17, v21, s2, v37
	v_fma_f32 v15, v80, 2.0, -v13
	v_fma_f32 v16, v81, 2.0, -v14
	v_lshl_add_u32 v17, v17, 3, v63
	v_and_b32_e32 v23, 31, v30
	ds_write2_b64 v17, v[15:16], v[13:14] offset1:16
	v_lshlrev_b32_e32 v13, 4, v23
	s_waitcnt lgkmcnt(0)
	s_barrier
	global_load_dwordx4 v[13:16], v13, s[12:13] offset:240
	v_and_b32_e32 v37, 31, v26
	v_lshlrev_b32_e32 v17, 4, v37
	global_load_dwordx4 v[17:20], v17, s[12:13] offset:240
	v_and_b32_e32 v39, 31, v41
	v_lshlrev_b32_e32 v21, 4, v39
	;; [unrolled: 3-line block ×3, first 2 shown]
	global_load_dwordx4 v[47:50], v21, s[12:13] offset:240
	ds_read_b64 v[21:22], v11
	ds_read2_b64 v[51:54], v0 offset0:48 offset1:160
	v_lshrrev_b32_e32 v75, 5, v26
	v_mul_u32_u24_e32 v75, 0x60, v75
	v_or_b32_e32 v75, v75, v37
	v_lshl_add_u32 v75, v75, 3, v63
	s_movk_i32 s2, 0x60
	s_mov_b32 s3, 0xaaab
	v_cmp_gt_u32_e32 vcc, s2, v26
	s_waitcnt vmcnt(3) lgkmcnt(1)
	v_mul_f32_e32 v56, v14, v22
	v_mul_f32_e32 v14, v14, v21
	v_fmac_f32_e32 v56, v13, v21
	v_fma_f32 v57, v13, v22, -v14
	s_waitcnt lgkmcnt(0)
	v_mul_f32_e32 v58, v16, v52
	v_mul_f32_e32 v13, v16, v51
	v_fmac_f32_e32 v58, v15, v51
	v_fma_f32 v59, v15, v52, -v13
	ds_read2_b64 v[13:16], v8 offset0:112 offset1:224
	s_waitcnt vmcnt(2)
	v_mul_f32_e32 v60, v54, v20
	v_mul_f32_e32 v21, v53, v20
	v_fmac_f32_e32 v60, v53, v19
	v_fma_f32 v61, v54, v19, -v21
	ds_read2_b64 v[51:54], v1 offset0:16 offset1:128
	s_waitcnt vmcnt(1) lgkmcnt(1)
	v_mul_f32_e32 v62, v14, v44
	v_fmac_f32_e32 v62, v13, v43
	v_mul_f32_e32 v13, v13, v44
	v_fma_f32 v66, v14, v43, -v13
	s_waitcnt lgkmcnt(0)
	v_mul_f32_e32 v67, v52, v46
	v_mul_f32_e32 v13, v51, v46
	v_fmac_f32_e32 v67, v51, v45
	v_fma_f32 v51, v52, v45, -v13
	v_mul_f32_e32 v13, v15, v18
	v_fma_f32 v68, v16, v17, -v13
	ds_read_b64 v[13:14], v10
	ds_read_b64 v[21:22], v9
	v_mul_f32_e32 v52, v16, v18
	v_fmac_f32_e32 v52, v15, v17
	v_mul_f32_e32 v69, v54, v20
	s_waitcnt lgkmcnt(1)
	v_mul_f32_e32 v45, v18, v14
	v_mul_f32_e32 v15, v53, v20
	ds_read2_b32 v[43:44], v12 offset1:1
	v_fmac_f32_e32 v45, v17, v13
	v_mul_f32_e32 v13, v18, v13
	v_fmac_f32_e32 v69, v53, v19
	v_fma_f32 v53, v54, v19, -v15
	v_fma_f32 v46, v17, v14, -v13
	ds_read2_b64 v[13:16], v6 offset0:80 offset1:192
	s_waitcnt lgkmcnt(1)
	v_mul_f32_e32 v54, v44, v18
	v_fmac_f32_e32 v54, v17, v43
	v_mul_f32_e32 v18, v18, v43
	v_fma_f32 v70, v44, v17, -v18
	s_waitcnt lgkmcnt(0)
	v_mul_f32_e32 v43, v20, v16
	v_fmac_f32_e32 v43, v19, v15
	v_mul_f32_e32 v15, v20, v15
	v_fma_f32 v44, v19, v16, -v15
	ds_read_b64 v[15:16], v31 offset:15232
	s_waitcnt vmcnt(0)
	v_mul_f32_e32 v71, v14, v48
	v_fmac_f32_e32 v71, v13, v47
	v_mul_f32_e32 v13, v13, v48
	v_fma_f32 v72, v14, v47, -v13
	ds_read_b64 v[13:14], v35
	ds_read_b64 v[17:18], v65
	;; [unrolled: 1-line block ×3, first 2 shown]
	s_waitcnt lgkmcnt(3)
	v_mul_f32_e32 v73, v16, v50
	v_fmac_f32_e32 v73, v15, v49
	v_mul_f32_e32 v15, v15, v50
	v_fma_f32 v49, v16, v49, -v15
	v_add_f32_e32 v16, v45, v43
	s_waitcnt lgkmcnt(0)
	v_add_f32_e32 v15, v19, v45
	v_fma_f32 v19, -0.5, v16, v19
	v_add_f32_e32 v16, v20, v46
	v_add_f32_e32 v16, v16, v44
	v_sub_f32_e32 v50, v46, v44
	v_add_f32_e32 v44, v46, v44
	v_fmac_f32_e32 v20, -0.5, v44
	v_sub_f32_e32 v74, v45, v43
	v_add_f32_e32 v15, v15, v43
	v_mov_b32_e32 v43, v19
	v_mov_b32_e32 v44, v20
	v_fmac_f32_e32 v19, 0x3f5db3d7, v50
	v_fmac_f32_e32 v20, 0xbf5db3d7, v74
	ds_read_b64 v[45:46], v64
	ds_read_b64 v[47:48], v7
	s_waitcnt lgkmcnt(0)
	s_barrier
	ds_write_b64 v75, v[19:20] offset:512
	v_lshrrev_b32_e32 v19, 5, v30
	v_mul_lo_u32 v19, v19, s2
	v_fmac_f32_e32 v43, 0xbf5db3d7, v50
	v_fmac_f32_e32 v44, 0x3f5db3d7, v74
	ds_write2_b64 v75, v[15:16], v[43:44] offset1:32
	v_add_f32_e32 v16, v56, v58
	v_add_f32_e32 v20, v57, v59
	;; [unrolled: 1-line block ×3, first 2 shown]
	v_fma_f32 v17, -0.5, v16, v17
	v_add_f32_e32 v16, v18, v57
	v_fmac_f32_e32 v18, -0.5, v20
	v_sub_f32_e32 v43, v57, v59
	v_sub_f32_e32 v44, v56, v58
	v_or_b32_e32 v23, v19, v23
	v_mov_b32_e32 v19, v17
	v_mov_b32_e32 v20, v18
	v_add_f32_e32 v15, v15, v58
	v_add_f32_e32 v16, v16, v59
	v_fmac_f32_e32 v19, 0xbf5db3d7, v43
	v_fmac_f32_e32 v20, 0x3f5db3d7, v44
	v_lshl_add_u32 v23, v23, 3, v63
	v_fmac_f32_e32 v17, 0x3f5db3d7, v43
	v_fmac_f32_e32 v18, 0xbf5db3d7, v44
	ds_write2_b64 v23, v[15:16], v[19:20] offset1:32
	ds_write_b64 v23, v[17:18] offset:512
	v_add_f32_e32 v16, v54, v60
	v_add_f32_e32 v17, v70, v61
	v_add_f32_e32 v15, v13, v54
	v_fma_f32 v13, -0.5, v16, v13
	v_add_f32_e32 v16, v14, v70
	v_fmac_f32_e32 v14, -0.5, v17
	v_lshrrev_b32_e32 v17, 5, v42
	v_mul_lo_u32 v23, v17, s2
	v_sub_f32_e32 v19, v70, v61
	v_sub_f32_e32 v20, v54, v60
	v_mov_b32_e32 v17, v13
	v_mov_b32_e32 v18, v14
	v_or_b32_e32 v23, v23, v37
	v_add_f32_e32 v15, v15, v60
	v_add_f32_e32 v16, v16, v61
	v_fmac_f32_e32 v17, 0xbf5db3d7, v19
	v_fmac_f32_e32 v18, 0x3f5db3d7, v20
	v_lshl_add_u32 v23, v23, 3, v63
	ds_write2_b64 v23, v[15:16], v[17:18] offset1:32
	v_lshrrev_b32_e32 v15, 5, v41
	v_mul_lo_u32 v15, v15, s2
	v_fmac_f32_e32 v13, 0x3f5db3d7, v19
	v_fmac_f32_e32 v14, 0xbf5db3d7, v20
	ds_write_b64 v23, v[13:14] offset:512
	v_add_f32_e32 v14, v62, v67
	v_add_f32_e32 v16, v66, v51
	;; [unrolled: 1-line block ×3, first 2 shown]
	v_fma_f32 v45, -0.5, v14, v45
	v_add_f32_e32 v14, v46, v66
	v_fmac_f32_e32 v46, -0.5, v16
	v_sub_f32_e32 v17, v66, v51
	v_sub_f32_e32 v18, v62, v67
	v_or_b32_e32 v19, v15, v39
	v_mov_b32_e32 v15, v45
	v_mov_b32_e32 v16, v46
	v_add_f32_e32 v13, v13, v67
	v_add_f32_e32 v14, v14, v51
	v_fmac_f32_e32 v15, 0xbf5db3d7, v17
	v_fmac_f32_e32 v16, 0x3f5db3d7, v18
	v_lshl_add_u32 v19, v19, 3, v63
	ds_write2_b64 v19, v[13:14], v[15:16] offset1:32
	v_lshrrev_b32_e32 v15, 5, v40
	v_mul_lo_u32 v15, v15, s2
	v_add_f32_e32 v14, v52, v69
	v_add_f32_e32 v16, v68, v53
	v_fmac_f32_e32 v45, 0x3f5db3d7, v17
	v_fmac_f32_e32 v46, 0xbf5db3d7, v18
	v_add_f32_e32 v13, v47, v52
	v_fma_f32 v47, -0.5, v14, v47
	v_add_f32_e32 v14, v48, v68
	v_fmac_f32_e32 v48, -0.5, v16
	ds_write_b64 v19, v[45:46] offset:512
	v_sub_f32_e32 v17, v68, v53
	v_sub_f32_e32 v18, v52, v69
	v_or_b32_e32 v19, v15, v37
	v_mov_b32_e32 v15, v47
	v_mov_b32_e32 v16, v48
	v_add_f32_e32 v13, v13, v69
	v_add_f32_e32 v14, v14, v53
	v_fmac_f32_e32 v15, 0xbf5db3d7, v17
	v_fmac_f32_e32 v16, 0x3f5db3d7, v18
	v_lshl_add_u32 v19, v19, 3, v63
	ds_write2_b64 v19, v[13:14], v[15:16] offset1:32
	v_lshrrev_b32_e32 v15, 5, v38
	v_mul_lo_u32 v15, v15, s2
	v_add_f32_e32 v14, v71, v73
	v_add_f32_e32 v16, v72, v49
	v_fmac_f32_e32 v47, 0x3f5db3d7, v17
	v_fmac_f32_e32 v48, 0xbf5db3d7, v18
	v_add_f32_e32 v13, v21, v71
	v_fma_f32 v21, -0.5, v14, v21
	v_add_f32_e32 v14, v22, v72
	v_fmac_f32_e32 v22, -0.5, v16
	ds_write_b64 v19, v[47:48] offset:512
	v_sub_f32_e32 v17, v72, v49
	v_sub_f32_e32 v18, v71, v73
	v_or_b32_e32 v19, v15, v55
	v_mov_b32_e32 v15, v21
	v_mov_b32_e32 v16, v22
	v_add_f32_e32 v13, v13, v73
	v_add_f32_e32 v14, v14, v49
	v_fmac_f32_e32 v15, 0xbf5db3d7, v17
	v_fmac_f32_e32 v16, 0x3f5db3d7, v18
	v_lshl_add_u32 v19, v19, 3, v63
	ds_write2_b64 v19, v[13:14], v[15:16] offset1:32
	v_mul_u32_u24_sdwa v13, v41, s3 dst_sel:DWORD dst_unused:UNUSED_PAD src0_sel:WORD_0 src1_sel:DWORD
	v_lshrrev_b32_e32 v23, 22, v13
	v_mul_lo_u16_e32 v13, 0x60, v23
	v_sub_u16_e32 v37, v41, v13
	v_fmac_f32_e32 v21, 0x3f5db3d7, v17
	v_fmac_f32_e32 v22, 0xbf5db3d7, v18
	v_lshlrev_b32_e32 v13, 4, v37
	ds_write_b64 v19, v[21:22] offset:512
	s_waitcnt lgkmcnt(0)
	s_barrier
	global_load_dwordx4 v[13:16], v13, s[12:13] offset:752
	v_mul_u32_u24_sdwa v17, v40, s3 dst_sel:DWORD dst_unused:UNUSED_PAD src0_sel:WORD_0 src1_sel:DWORD
	v_lshrrev_b32_e32 v39, 22, v17
	v_mul_lo_u16_e32 v17, 0x60, v39
	v_sub_u16_e32 v61, v40, v17
	v_lshlrev_b32_e32 v17, 4, v61
	global_load_dwordx4 v[17:20], v17, s[12:13] offset:752
	ds_read2_b64 v[43:46], v8 offset0:112 offset1:224
	ds_read2_b64 v[47:50], v1 offset0:16 offset1:128
	v_mul_u32_u24_sdwa v8, v42, s3 dst_sel:DWORD dst_unused:UNUSED_PAD src0_sel:WORD_0 src1_sel:DWORD
	v_lshrrev_b32_e32 v62, 22, v8
	v_mul_lo_u16_e32 v8, 0x60, v62
	v_sub_u16_e32 v66, v42, v8
	v_lshlrev_b32_e32 v8, 4, v66
	global_load_dwordx4 v[53:56], v8, s[12:13] offset:752
	v_mov_b32_e32 v52, 0
	s_movk_i32 s2, 0x5f
	s_waitcnt vmcnt(2) lgkmcnt(1)
	v_mul_f32_e32 v8, v43, v14
	v_fma_f32 v68, v44, v13, -v8
	s_waitcnt lgkmcnt(0)
	v_mul_f32_e32 v69, v48, v16
	v_mul_f32_e32 v8, v47, v16
	v_fmac_f32_e32 v69, v47, v15
	v_fma_f32 v47, v48, v15, -v8
	v_mul_lo_u16_sdwa v8, v30, s6 dst_sel:DWORD dst_unused:UNUSED_PAD src0_sel:BYTE_0 src1_sel:DWORD
	v_lshrrev_b16_e32 v48, 14, v8
	v_mul_lo_u16_e32 v8, 0x60, v48
	v_sub_u16_e32 v70, v30, v8
	v_mov_b32_e32 v8, 4
	v_mul_f32_e32 v67, v44, v14
	v_lshlrev_b32_sdwa v8, v8, v70 dst_sel:DWORD dst_unused:UNUSED_PAD src0_sel:DWORD src1_sel:BYTE_0
	v_fmac_f32_e32 v67, v43, v13
	global_load_dwordx4 v[13:16], v8, s[12:13] offset:752
	v_mul_u32_u24_sdwa v8, v38, s3 dst_sel:DWORD dst_unused:UNUSED_PAD src0_sel:WORD_0 src1_sel:DWORD
	v_lshrrev_b32_e32 v71, 22, v8
	v_mul_lo_u16_e32 v8, 0x60, v71
	v_sub_u16_e32 v72, v38, v8
	v_lshlrev_b32_e32 v8, 4, v72
	global_load_dwordx4 v[57:60], v8, s[12:13] offset:752
	s_waitcnt vmcnt(3)
	v_mul_f32_e32 v8, v45, v18
	v_fma_f32 v74, v46, v17, -v8
	v_mul_f32_e32 v75, v50, v20
	v_mul_f32_e32 v8, v49, v20
	v_fmac_f32_e32 v75, v49, v19
	v_fma_f32 v49, v50, v19, -v8
	v_add_u32_e32 v8, 0xffffffa0, v26
	v_cndmask_b32_e32 v50, v8, v26, vcc
	v_mul_f32_e32 v73, v46, v18
	v_lshlrev_b32_e32 v51, 1, v50
	v_fmac_f32_e32 v73, v45, v17
	v_lshlrev_b64 v[17:18], 3, v[51:52]
	v_mov_b32_e32 v8, s13
	v_add_co_u32_e32 v17, vcc, s12, v17
	v_addc_co_u32_e32 v18, vcc, v8, v18, vcc
	global_load_dwordx4 v[17:20], v[17:18], off offset:752
	ds_read_b64 v[21:22], v11
	ds_read_b64 v[43:44], v12
	v_cmp_lt_u32_e32 vcc, s2, v26
	s_movk_i32 s2, 0x900
	s_waitcnt vmcnt(2) lgkmcnt(1)
	v_mul_f32_e32 v51, v14, v22
	v_mul_f32_e32 v8, v14, v21
	v_fmac_f32_e32 v51, v13, v21
	v_fma_f32 v21, v13, v22, -v8
	ds_read2_b64 v[11:14], v0 offset0:48 offset1:160
	s_waitcnt lgkmcnt(0)
	v_mul_f32_e32 v8, v16, v11
	v_mul_f32_e32 v22, v16, v12
	v_fma_f32 v76, v15, v12, -v8
	v_mul_f32_e32 v77, v14, v56
	v_mul_f32_e32 v8, v13, v56
	v_fmac_f32_e32 v22, v15, v11
	v_fmac_f32_e32 v77, v13, v55
	v_fma_f32 v55, v14, v55, -v8
	ds_read_b64 v[14:15], v10
	ds_read2_b64 v[10:13], v6 offset0:80 offset1:192
	ds_read_b64 v[45:46], v9
	v_mul_f32_e32 v56, v44, v54
	v_mul_f32_e32 v8, v43, v54
	v_fmac_f32_e32 v56, v43, v53
	v_fma_f32 v53, v44, v53, -v8
	s_waitcnt vmcnt(0) lgkmcnt(2)
	v_mul_f32_e32 v6, v18, v15
	v_mul_f32_e32 v8, v18, v14
	v_fmac_f32_e32 v6, v17, v14
	v_fma_f32 v16, v17, v15, -v8
	s_waitcnt lgkmcnt(1)
	v_mul_f32_e32 v17, v20, v13
	v_mul_f32_e32 v8, v20, v12
	v_fmac_f32_e32 v17, v19, v12
	v_fma_f32 v18, v19, v13, -v8
	v_mul_f32_e32 v19, v11, v58
	v_fmac_f32_e32 v19, v10, v57
	v_mul_f32_e32 v10, v10, v58
	ds_read_b64 v[8:9], v31 offset:15232
	v_fma_f32 v20, v11, v57, -v10
	ds_read_b64 v[10:11], v65
	ds_read_b64 v[12:13], v33
	v_add_f32_e32 v15, v6, v17
	v_sub_f32_e32 v58, v16, v18
	s_waitcnt lgkmcnt(2)
	v_mul_f32_e32 v54, v9, v60
	v_fmac_f32_e32 v54, v8, v59
	s_waitcnt lgkmcnt(0)
	v_add_f32_e32 v14, v12, v6
	v_fma_f32 v12, -0.5, v15, v12
	v_add_f32_e32 v15, v13, v16
	v_add_f32_e32 v15, v15, v18
	;; [unrolled: 1-line block ×3, first 2 shown]
	v_sub_f32_e32 v18, v6, v17
	v_mov_b32_e32 v6, 0x900
	v_cndmask_b32_e32 v6, 0, v6, vcc
	v_fmac_f32_e32 v13, -0.5, v16
	v_add_u32_e32 v6, 0, v6
	v_lshlrev_b32_e32 v16, 3, v50
	v_add_f32_e32 v14, v14, v17
	v_add3_u32 v50, v6, v16, v3
	v_mov_b32_e32 v16, v12
	v_mov_b32_e32 v17, v13
	v_mul_f32_e32 v8, v8, v60
	v_fmac_f32_e32 v16, 0xbf5db3d7, v58
	v_fmac_f32_e32 v17, 0x3f5db3d7, v18
	;; [unrolled: 1-line block ×4, first 2 shown]
	v_fma_f32 v57, v9, v59, -v8
	ds_read_b64 v[8:9], v35
	ds_read_b64 v[43:44], v7
	;; [unrolled: 1-line block ×3, first 2 shown]
	s_waitcnt lgkmcnt(0)
	s_barrier
	ds_write2_b64 v50, v[14:15], v[16:17] offset1:96
	ds_write_b64 v50, v[12:13] offset:1536
	v_add_f32_e32 v13, v51, v22
	v_add_f32_e32 v14, v21, v76
	;; [unrolled: 1-line block ×3, first 2 shown]
	v_fma_f32 v10, -0.5, v13, v10
	v_add_f32_e32 v13, v11, v21
	v_fmac_f32_e32 v11, -0.5, v14
	v_mov_b32_e32 v14, 3
	v_lshlrev_b32_sdwa v14, v14, v70 dst_sel:DWORD dst_unused:UNUSED_PAD src0_sel:DWORD src1_sel:BYTE_0
	v_mad_u32_u24 v15, v48, s2, 0
	v_sub_f32_e32 v16, v21, v76
	v_sub_f32_e32 v17, v51, v22
	v_add3_u32 v18, v15, v14, v3
	v_mov_b32_e32 v14, v10
	v_mov_b32_e32 v15, v11
	v_add_f32_e32 v12, v12, v22
	v_add_f32_e32 v13, v13, v76
	v_fmac_f32_e32 v14, 0xbf5db3d7, v16
	v_fmac_f32_e32 v15, 0x3f5db3d7, v17
	v_fmac_f32_e32 v10, 0x3f5db3d7, v16
	v_fmac_f32_e32 v11, 0xbf5db3d7, v17
	ds_write2_b64 v18, v[12:13], v[14:15] offset1:96
	ds_write_b64 v18, v[10:11] offset:1536
	v_add_f32_e32 v11, v56, v77
	v_add_f32_e32 v12, v53, v55
	v_add_f32_e32 v10, v8, v56
	v_fma_f32 v8, -0.5, v11, v8
	v_add_f32_e32 v11, v9, v53
	v_fmac_f32_e32 v9, -0.5, v12
	v_mad_u32_u24 v12, v62, s2, 0
	v_lshlrev_b32_e32 v13, 3, v66
	v_sub_f32_e32 v14, v53, v55
	v_sub_f32_e32 v15, v56, v77
	v_add3_u32 v16, v12, v13, v3
	v_mov_b32_e32 v12, v8
	v_mov_b32_e32 v13, v9
	v_add_f32_e32 v10, v10, v77
	v_add_f32_e32 v11, v11, v55
	v_fmac_f32_e32 v12, 0xbf5db3d7, v14
	v_fmac_f32_e32 v13, 0x3f5db3d7, v15
	v_fmac_f32_e32 v8, 0x3f5db3d7, v14
	v_fmac_f32_e32 v9, 0xbf5db3d7, v15
	ds_write2_b64 v16, v[10:11], v[12:13] offset1:96
	ds_write_b64 v16, v[8:9] offset:1536
	v_add_f32_e32 v9, v67, v69
	v_add_f32_e32 v10, v68, v47
	v_add_f32_e32 v8, v6, v67
	v_fma_f32 v6, -0.5, v9, v6
	v_add_f32_e32 v9, v7, v68
	v_fmac_f32_e32 v7, -0.5, v10
	v_mad_u32_u24 v10, v23, s2, 0
	v_lshlrev_b32_e32 v11, 3, v37
	;; [unrolled: 21-line block ×3, first 2 shown]
	v_sub_f32_e32 v10, v74, v49
	v_sub_f32_e32 v11, v73, v75
	v_add3_u32 v12, v8, v9, v3
	v_mov_b32_e32 v8, v43
	v_mov_b32_e32 v9, v44
	v_add_f32_e32 v6, v6, v75
	v_add_f32_e32 v7, v7, v49
	v_fmac_f32_e32 v8, 0xbf5db3d7, v10
	v_fmac_f32_e32 v9, 0x3f5db3d7, v11
	ds_write2_b64 v12, v[6:7], v[8:9] offset1:96
	v_mad_u32_u24 v6, v71, s2, 0
	v_lshlrev_b32_e32 v7, 3, v72
	v_add3_u32 v3, v6, v7, v3
	v_add_f32_e32 v6, v45, v19
	v_add_f32_e32 v49, v6, v54
	;; [unrolled: 1-line block ×6, first 2 shown]
	v_fma_f32 v45, -0.5, v7, v45
	v_fmac_f32_e32 v46, -0.5, v6
	v_fmac_f32_e32 v43, 0x3f5db3d7, v10
	v_fmac_f32_e32 v44, 0xbf5db3d7, v11
	v_sub_f32_e32 v7, v20, v57
	v_mov_b32_e32 v47, v45
	v_sub_f32_e32 v6, v19, v54
	v_mov_b32_e32 v48, v46
	v_fmac_f32_e32 v47, 0xbf5db3d7, v7
	v_fmac_f32_e32 v45, 0x3f5db3d7, v7
	;; [unrolled: 1-line block ×4, first 2 shown]
	ds_write_b64 v12, v[43:44] offset:1536
	ds_write2_b64 v3, v[49:50], v[47:48] offset1:96
	ds_write_b64 v3, v[45:46] offset:1536
	v_add_u32_e32 v3, 0x2000, v31
	s_waitcnt lgkmcnt(0)
	s_barrier
	ds_read_b64 v[61:62], v33
	ds_read_b64 v[59:60], v65
	ds_read2_b64 v[20:23], v2 offset0:32 offset1:144
	ds_read2_b64 v[16:19], v4 offset0:64 offset1:176
	;; [unrolled: 1-line block ×6, first 2 shown]
	v_cmp_gt_u32_e32 vcc, 64, v26
                                        ; implicit-def: $vgpr54
                                        ; implicit-def: $vgpr58
                                        ; implicit-def: $vgpr56
	s_and_saveexec_b64 s[2:3], vcc
	s_cbranch_execz .LBB0_15
; %bb.14:
	ds_read_b64 v[49:50], v31 offset:4096
	ds_read_b64 v[47:48], v31 offset:6400
	;; [unrolled: 1-line block ×5, first 2 shown]
	ds_read_b64 v[43:44], v35
	ds_read_b64 v[57:58], v31 offset:15616
.LBB0_15:
	s_or_b64 exec, exec, s[2:3]
	v_mul_u32_u24_e32 v37, 6, v26
	v_lshlrev_b32_e32 v37, 3, v37
	global_load_dwordx4 v[66:69], v37, s[12:13] offset:2320
	global_load_dwordx4 v[70:73], v37, s[12:13] offset:2304
	;; [unrolled: 1-line block ×3, first 2 shown]
	v_mul_i32_i24_e32 v51, 6, v30
	s_mov_b32 s6, 0xbf5ff5aa
	s_mov_b32 s7, 0x3f3bfb3b
	;; [unrolled: 1-line block ×4, first 2 shown]
	s_waitcnt vmcnt(0) lgkmcnt(5)
	v_mul_f32_e32 v37, v75, v21
	v_fmac_f32_e32 v37, v74, v20
	v_mul_f32_e32 v20, v75, v20
	v_fma_f32 v20, v74, v21, -v20
	s_waitcnt lgkmcnt(4)
	v_mul_f32_e32 v21, v77, v17
	v_fmac_f32_e32 v21, v76, v16
	v_mul_f32_e32 v16, v77, v16
	v_fma_f32 v16, v76, v17, -v16
	s_waitcnt lgkmcnt(3)
	;; [unrolled: 5-line block ×5, first 2 shown]
	v_mul_f32_e32 v5, v69, v1
	v_fmac_f32_e32 v5, v68, v0
	v_mul_f32_e32 v0, v69, v0
	v_fma_f32 v39, v68, v1, -v0
	v_lshlrev_b64 v[0:1], 3, v[51:52]
	v_mov_b32_e32 v51, s13
	v_add_co_u32_e64 v0, s[2:3], s12, v0
	v_addc_co_u32_e64 v1, s[2:3], v51, v1, s[2:3]
	global_load_dwordx4 v[66:69], v[0:1], off offset:2320
	global_load_dwordx4 v[70:73], v[0:1], off offset:2304
	;; [unrolled: 1-line block ×3, first 2 shown]
	v_add_f32_e32 v1, v20, v39
	s_waitcnt vmcnt(0)
	s_barrier
	v_mul_f32_e32 v51, v75, v23
	v_mul_f32_e32 v0, v75, v22
	v_fmac_f32_e32 v51, v74, v22
	v_fma_f32 v22, v74, v23, -v0
	v_mul_f32_e32 v23, v77, v19
	v_mul_f32_e32 v0, v77, v18
	v_fmac_f32_e32 v23, v76, v18
	v_fma_f32 v18, v76, v19, -v0
	;; [unrolled: 4-line block ×3, first 2 shown]
	v_mul_f32_e32 v0, v10, v73
	v_fma_f32 v52, v11, v72, -v0
	v_mul_f32_e32 v70, v7, v67
	v_mul_f32_e32 v0, v6, v67
	v_fmac_f32_e32 v70, v6, v66
	v_fma_f32 v66, v7, v66, -v0
	v_mul_f32_e32 v67, v3, v69
	v_mul_f32_e32 v0, v2, v69
	;; [unrolled: 1-line block ×3, first 2 shown]
	v_fmac_f32_e32 v67, v2, v68
	v_fma_f32 v68, v3, v68, -v0
	v_add_f32_e32 v0, v37, v5
	v_sub_f32_e32 v2, v37, v5
	v_add_f32_e32 v5, v21, v9
	v_fmac_f32_e32 v15, v10, v72
	v_add_f32_e32 v6, v16, v4
	v_sub_f32_e32 v7, v21, v9
	v_add_f32_e32 v9, v17, v13
	v_add_f32_e32 v10, v12, v8
	v_sub_f32_e32 v11, v13, v17
	v_sub_f32_e32 v8, v8, v12
	v_add_f32_e32 v12, v5, v0
	v_sub_f32_e32 v3, v20, v39
	v_sub_f32_e32 v4, v16, v4
	;; [unrolled: 3-line block ×3, first 2 shown]
	v_sub_f32_e32 v5, v9, v5
	v_add_f32_e32 v0, v11, v7
	v_add_f32_e32 v9, v9, v12
	v_sub_f32_e32 v17, v6, v1
	v_sub_f32_e32 v21, v1, v10
	;; [unrolled: 1-line block ×3, first 2 shown]
	v_add_f32_e32 v1, v8, v4
	v_sub_f32_e32 v37, v11, v7
	v_sub_f32_e32 v11, v2, v11
	;; [unrolled: 1-line block ×3, first 2 shown]
	v_add_f32_e32 v10, v10, v13
	v_add_f32_e32 v2, v0, v2
	;; [unrolled: 1-line block ×3, first 2 shown]
	v_sub_f32_e32 v39, v8, v4
	v_sub_f32_e32 v8, v3, v8
	;; [unrolled: 1-line block ×3, first 2 shown]
	v_add_f32_e32 v3, v1, v3
	v_add_f32_e32 v1, v62, v10
	v_mov_b32_e32 v69, v0
	v_mul_f32_e32 v12, 0x3f4a47b2, v20
	v_mul_f32_e32 v13, 0x3f4a47b2, v21
	;; [unrolled: 1-line block ×8, first 2 shown]
	v_fmac_f32_e32 v69, 0xbf955555, v9
	v_mov_b32_e32 v9, v1
	v_fmac_f32_e32 v9, 0xbf955555, v10
	v_fma_f32 v10, v16, s7, -v20
	v_fma_f32 v20, v17, s7, -v21
	;; [unrolled: 1-line block ×3, first 2 shown]
	v_fmac_f32_e32 v12, 0x3d64c772, v5
	v_fma_f32 v5, v17, s8, -v13
	v_fma_f32 v17, v7, s6, -v37
	v_fmac_f32_e32 v37, 0xbeae86e6, v11
	v_fma_f32 v21, v4, s6, -v39
	v_fma_f32 v11, v11, s9, -v61
	v_fma_f32 v61, v8, s9, -v62
	v_fmac_f32_e32 v13, 0x3d64c772, v6
	v_fmac_f32_e32 v39, 0xbeae86e6, v8
	v_add_f32_e32 v8, v10, v69
	v_add_f32_e32 v10, v20, v9
	;; [unrolled: 1-line block ×3, first 2 shown]
	v_fmac_f32_e32 v17, 0xbee1c552, v2
	v_fmac_f32_e32 v21, 0xbee1c552, v3
	;; [unrolled: 1-line block ×3, first 2 shown]
	v_add_f32_e32 v12, v12, v69
	v_add_f32_e32 v13, v13, v9
	;; [unrolled: 1-line block ×3, first 2 shown]
	v_fmac_f32_e32 v37, 0xbee1c552, v2
	v_fmac_f32_e32 v39, 0xbee1c552, v3
	v_add_f32_e32 v4, v61, v16
	v_sub_f32_e32 v6, v8, v21
	v_add_f32_e32 v7, v17, v10
	v_add_f32_e32 v8, v21, v8
	v_sub_f32_e32 v9, v10, v17
	v_sub_f32_e32 v10, v16, v61
	v_add_f32_e32 v16, v51, v67
	v_add_f32_e32 v17, v22, v68
	v_sub_f32_e32 v21, v22, v68
	v_add_f32_e32 v22, v23, v70
	v_fmac_f32_e32 v11, 0xbee1c552, v2
	v_add_f32_e32 v2, v39, v12
	v_sub_f32_e32 v3, v13, v37
	v_sub_f32_e32 v12, v12, v39
	v_add_f32_e32 v13, v37, v13
	v_add_f32_e32 v37, v18, v66
	;; [unrolled: 1-line block ×3, first 2 shown]
	v_sub_f32_e32 v15, v15, v19
	v_add_f32_e32 v19, v22, v16
	v_sub_f32_e32 v5, v20, v11
	v_add_f32_e32 v11, v11, v20
	v_sub_f32_e32 v20, v51, v67
	v_sub_f32_e32 v23, v23, v70
	;; [unrolled: 1-line block ×3, first 2 shown]
	v_add_f32_e32 v51, v14, v52
	v_sub_f32_e32 v14, v52, v14
	v_add_f32_e32 v52, v37, v17
	v_add_f32_e32 v19, v39, v19
	v_sub_f32_e32 v61, v22, v16
	v_sub_f32_e32 v16, v16, v39
	;; [unrolled: 1-line block ×3, first 2 shown]
	v_add_f32_e32 v67, v14, v18
	v_sub_f32_e32 v68, v15, v23
	v_sub_f32_e32 v69, v14, v18
	;; [unrolled: 1-line block ×3, first 2 shown]
	v_add_f32_e32 v39, v51, v52
	v_add_f32_e32 v14, v59, v19
	v_sub_f32_e32 v62, v37, v17
	v_sub_f32_e32 v17, v17, v51
	;; [unrolled: 1-line block ×3, first 2 shown]
	v_add_f32_e32 v66, v15, v23
	v_sub_f32_e32 v70, v20, v15
	v_sub_f32_e32 v23, v23, v20
	;; [unrolled: 1-line block ×3, first 2 shown]
	v_add_f32_e32 v15, v60, v39
	v_mul_f32_e32 v60, 0x3f08b237, v68
	v_mov_b32_e32 v68, v14
	v_add_f32_e32 v20, v66, v20
	v_add_f32_e32 v21, v67, v21
	v_mul_f32_e32 v16, 0x3f4a47b2, v16
	v_mul_f32_e32 v17, 0x3f4a47b2, v17
	;; [unrolled: 1-line block ×7, first 2 shown]
	v_fmac_f32_e32 v68, 0xbf955555, v19
	v_mov_b32_e32 v19, v15
	v_fmac_f32_e32 v19, 0xbf955555, v39
	v_fma_f32 v39, v61, s7, -v51
	v_fma_f32 v51, v62, s7, -v52
	v_fma_f32 v52, v61, s8, -v16
	v_fmac_f32_e32 v16, 0x3d64c772, v22
	v_fma_f32 v22, v62, s8, -v17
	v_fmac_f32_e32 v17, 0x3d64c772, v37
	v_fma_f32 v23, v23, s6, -v60
	;; [unrolled: 2-line block ×4, first 2 shown]
	v_fma_f32 v62, v71, s9, -v67
	v_add_f32_e32 v66, v16, v68
	v_add_f32_e32 v67, v17, v19
	;; [unrolled: 1-line block ×6, first 2 shown]
	v_fmac_f32_e32 v60, 0xbee1c552, v20
	v_fmac_f32_e32 v59, 0xbee1c552, v21
	;; [unrolled: 1-line block ×6, first 2 shown]
	v_add_f32_e32 v16, v59, v66
	v_sub_f32_e32 v17, v67, v60
	v_add_f32_e32 v18, v62, v52
	v_sub_f32_e32 v19, v68, v61
	v_sub_f32_e32 v20, v39, v37
	v_add_f32_e32 v21, v23, v51
	v_add_f32_e32 v22, v37, v39
	v_sub_f32_e32 v23, v51, v23
	v_sub_f32_e32 v51, v52, v62
	v_add_f32_e32 v52, v61, v68
	v_sub_f32_e32 v59, v66, v59
	v_add_f32_e32 v60, v60, v67
	ds_write_b64 v31, v[0:1]
	ds_write_b64 v31, v[2:3] offset:2304
	ds_write_b64 v31, v[4:5] offset:4608
	;; [unrolled: 1-line block ×6, first 2 shown]
	ds_write_b64 v65, v[14:15]
	ds_write_b64 v65, v[16:17] offset:2304
	ds_write_b64 v65, v[18:19] offset:4608
	;; [unrolled: 1-line block ×6, first 2 shown]
	s_and_saveexec_b64 s[2:3], vcc
	s_cbranch_execz .LBB0_17
; %bb.16:
	v_subrev_u32_e32 v0, 64, v26
	v_cndmask_b32_e32 v0, v0, v42, vcc
	v_mul_i32_i24_e32 v0, 6, v0
	v_mov_b32_e32 v1, 0
	v_lshlrev_b64 v[0:1], 3, v[0:1]
	v_mov_b32_e32 v2, s13
	v_add_co_u32_e32 v12, vcc, s12, v0
	v_addc_co_u32_e32 v13, vcc, v2, v1, vcc
	global_load_dwordx4 v[0:3], v[12:13], off offset:2288
	global_load_dwordx4 v[4:7], v[12:13], off offset:2320
	;; [unrolled: 1-line block ×3, first 2 shown]
	s_waitcnt vmcnt(2)
	v_mul_f32_e32 v12, v50, v1
	s_waitcnt vmcnt(1)
	v_mul_f32_e32 v13, v58, v7
	;; [unrolled: 2-line block ×3, first 2 shown]
	v_mul_f32_e32 v15, v46, v9
	v_mul_f32_e32 v16, v48, v3
	v_mul_f32_e32 v17, v56, v5
	v_mul_f32_e32 v7, v57, v7
	v_mul_f32_e32 v1, v49, v1
	v_mul_f32_e32 v9, v45, v9
	v_mul_f32_e32 v11, v53, v11
	v_mul_f32_e32 v5, v55, v5
	v_mul_f32_e32 v3, v47, v3
	v_fmac_f32_e32 v12, v49, v0
	v_fmac_f32_e32 v13, v57, v6
	;; [unrolled: 1-line block ×6, first 2 shown]
	v_fma_f32 v6, v58, v6, -v7
	v_fma_f32 v0, v50, v0, -v1
	;; [unrolled: 1-line block ×6, first 2 shown]
	v_sub_f32_e32 v3, v12, v13
	v_sub_f32_e32 v5, v14, v15
	;; [unrolled: 1-line block ×3, first 2 shown]
	v_add_f32_e32 v9, v0, v6
	v_add_f32_e32 v10, v1, v7
	;; [unrolled: 1-line block ×6, first 2 shown]
	v_sub_f32_e32 v6, v0, v6
	v_sub_f32_e32 v0, v7, v1
	;; [unrolled: 1-line block ×5, first 2 shown]
	v_add_f32_e32 v5, v5, v8
	v_sub_f32_e32 v7, v9, v10
	v_add_f32_e32 v16, v11, v9
	v_sub_f32_e32 v17, v12, v13
	;; [unrolled: 2-line block ×3, first 2 shown]
	v_sub_f32_e32 v18, v13, v14
	v_sub_f32_e32 v20, v6, v0
	;; [unrolled: 1-line block ×3, first 2 shown]
	v_add_f32_e32 v0, v0, v4
	v_sub_f32_e32 v8, v8, v3
	v_add_f32_e32 v22, v5, v3
	v_mul_f32_e32 v5, 0x3f4a47b2, v7
	v_add_f32_e32 v3, v10, v16
	v_mul_f32_e32 v10, 0x3f4a47b2, v17
	v_add_f32_e32 v13, v13, v19
	v_sub_f32_e32 v9, v11, v9
	v_mul_f32_e32 v11, 0x3f08b237, v1
	v_mul_f32_e32 v17, 0x3f08b237, v21
	v_add_f32_e32 v19, v0, v6
	v_mov_b32_e32 v37, v5
	v_add_f32_e32 v1, v44, v3
	v_mov_b32_e32 v39, v10
	v_add_f32_e32 v0, v43, v13
	v_sub_f32_e32 v6, v4, v6
	v_mul_f32_e32 v7, 0x3d64c772, v15
	v_mul_f32_e32 v16, 0x3d64c772, v18
	;; [unrolled: 1-line block ×3, first 2 shown]
	v_mov_b32_e32 v23, v11
	v_mov_b32_e32 v43, v17
	v_fmac_f32_e32 v37, 0x3d64c772, v15
	v_mov_b32_e32 v15, v1
	v_fmac_f32_e32 v39, 0x3d64c772, v18
	v_mov_b32_e32 v18, v0
	v_sub_f32_e32 v12, v14, v12
	v_mul_f32_e32 v4, 0xbf5ff5aa, v6
	v_fma_f32 v21, v2, s9, -v21
	v_fmac_f32_e32 v23, 0xbeae86e6, v2
	v_fmac_f32_e32 v43, 0xbeae86e6, v20
	;; [unrolled: 1-line block ×4, first 2 shown]
	v_fma_f32 v5, v9, s8, -v5
	v_fma_f32 v10, v12, s8, -v10
	;; [unrolled: 1-line block ×7, first 2 shown]
	v_fmac_f32_e32 v21, 0xbee1c552, v22
	v_fmac_f32_e32 v23, 0xbee1c552, v22
	;; [unrolled: 1-line block ×3, first 2 shown]
	v_add_f32_e32 v13, v37, v15
	v_add_f32_e32 v37, v39, v18
	;; [unrolled: 1-line block ×4, first 2 shown]
	v_fmac_f32_e32 v14, 0xbee1c552, v19
	v_add_f32_e32 v9, v7, v15
	v_fmac_f32_e32 v8, 0xbee1c552, v22
	v_fmac_f32_e32 v11, 0xbee1c552, v19
	v_add_f32_e32 v12, v6, v18
	v_add_f32_e32 v3, v23, v13
	v_sub_f32_e32 v2, v37, v43
	v_add_f32_e32 v5, v21, v39
	v_sub_f32_e32 v4, v10, v14
	v_sub_f32_e32 v7, v9, v8
	v_add_f32_e32 v6, v11, v12
	v_add_f32_e32 v9, v8, v9
	v_sub_f32_e32 v8, v12, v11
	v_sub_f32_e32 v11, v39, v21
	v_add_f32_e32 v10, v14, v10
	v_sub_f32_e32 v13, v13, v23
	v_add_f32_e32 v12, v43, v37
	ds_write_b64 v31, v[0:1] offset:1792
	ds_write_b64 v31, v[12:13] offset:4096
	;; [unrolled: 1-line block ×7, first 2 shown]
.LBB0_17:
	s_or_b64 exec, exec, s[2:3]
	s_waitcnt lgkmcnt(0)
	s_barrier
	ds_read_b64 v[2:3], v33
	s_add_u32 s6, s12, 0x3ef0
	s_addc_u32 s7, s13, 0
	v_sub_u32_e32 v4, v63, v27
	v_cmp_ne_u32_e32 vcc, 0, v26
                                        ; implicit-def: $vgpr0
                                        ; implicit-def: $vgpr5
                                        ; implicit-def: $vgpr6
	s_and_saveexec_b64 s[2:3], vcc
	s_xor_b64 s[2:3], exec, s[2:3]
	s_cbranch_execz .LBB0_19
; %bb.18:
	v_mov_b32_e32 v27, 0
	v_lshlrev_b64 v[0:1], 3, v[26:27]
	v_mov_b32_e32 v5, s7
	v_add_co_u32_e32 v0, vcc, s6, v0
	v_addc_co_u32_e32 v1, vcc, v5, v1, vcc
	global_load_dwordx2 v[7:8], v[0:1], off
	ds_read_b64 v[0:1], v4 offset:16128
	s_waitcnt lgkmcnt(0)
	v_add_f32_e32 v9, v0, v2
	v_sub_f32_e32 v0, v2, v0
	v_add_f32_e32 v5, v1, v3
	v_sub_f32_e32 v1, v3, v1
	v_mul_f32_e32 v3, 0.5, v0
	v_mul_f32_e32 v2, 0.5, v5
	;; [unrolled: 1-line block ×3, first 2 shown]
	s_waitcnt vmcnt(0)
	v_mul_f32_e32 v1, v8, v3
	v_fma_f32 v6, v2, v8, v0
	v_fma_f32 v8, v2, v8, -v0
	v_fma_f32 v5, 0.5, v9, v1
	v_fma_f32 v0, v9, 0.5, -v1
	v_fma_f32 v6, -v7, v3, v6
	v_fmac_f32_e32 v5, v7, v2
	v_fma_f32 v0, -v7, v2, v0
	v_fma_f32 v1, -v7, v3, v8
                                        ; implicit-def: $vgpr2_vgpr3
.LBB0_19:
	s_andn2_saveexec_b64 s[2:3], s[2:3]
	s_cbranch_execz .LBB0_21
; %bb.20:
	ds_read_b32 v1, v63 offset:8068
	s_waitcnt lgkmcnt(1)
	v_add_f32_e32 v5, v2, v3
	v_sub_f32_e32 v0, v2, v3
	v_mov_b32_e32 v6, 0
	s_waitcnt lgkmcnt(0)
	v_xor_b32_e32 v1, 0x80000000, v1
	ds_write_b32 v63, v1 offset:8068
	v_mov_b32_e32 v1, 0
.LBB0_21:
	s_or_b64 exec, exec, s[2:3]
	v_mov_b32_e32 v31, 0
	s_waitcnt lgkmcnt(0)
	v_lshlrev_b64 v[2:3], 3, v[30:31]
	v_mov_b32_e32 v7, s7
	v_add_co_u32_e32 v2, vcc, s6, v2
	v_addc_co_u32_e32 v3, vcc, v7, v3, vcc
	global_load_dwordx2 v[2:3], v[2:3], off
	v_mov_b32_e32 v43, v31
	v_lshlrev_b64 v[7:8], 3, v[42:43]
	v_mov_b32_e32 v9, s7
	v_add_co_u32_e32 v7, vcc, s6, v7
	v_addc_co_u32_e32 v8, vcc, v9, v8, vcc
	global_load_dwordx2 v[7:8], v[7:8], off
	v_mov_b32_e32 v42, v31
	v_lshlrev_b64 v[9:10], 3, v[41:42]
	v_mov_b32_e32 v11, s7
	v_add_co_u32_e32 v9, vcc, s6, v9
	v_addc_co_u32_e32 v10, vcc, v11, v10, vcc
	global_load_dwordx2 v[9:10], v[9:10], off
	v_mov_b32_e32 v41, v31
	v_lshlrev_b64 v[11:12], 3, v[40:41]
	v_mov_b32_e32 v18, s7
	v_add_co_u32_e32 v11, vcc, s6, v11
	ds_write2_b32 v33, v5, v6 offset1:1
	ds_write_b64 v4, v[0:1] offset:16128
	v_addc_co_u32_e32 v12, vcc, v18, v12, vcc
	ds_read_b64 v[0:1], v65
	ds_read_b64 v[5:6], v4 offset:15232
	global_load_dwordx2 v[11:12], v[11:12], off
	v_mov_b32_e32 v39, v31
	v_lshlrev_b64 v[13:14], 3, v[38:39]
	v_mov_b32_e32 v19, s7
	s_waitcnt lgkmcnt(0)
	v_add_f32_e32 v18, v0, v5
	v_sub_f32_e32 v0, v0, v5
	v_add_f32_e32 v21, v1, v6
	v_sub_f32_e32 v1, v1, v6
	v_mul_f32_e32 v0, 0.5, v0
	v_mul_f32_e32 v5, 0.5, v21
	;; [unrolled: 1-line block ×3, first 2 shown]
	v_mov_b32_e32 v37, v31
	v_lshlrev_b64 v[15:16], 3, v[36:37]
	v_mov_b32_e32 v20, s7
	v_lshl_add_u32 v17, v40, 3, v63
	v_mov_b32_e32 v33, v31
	s_waitcnt vmcnt(3)
	v_mul_f32_e32 v6, v3, v0
	v_fma_f32 v21, v5, v3, v1
	v_fma_f32 v1, v5, v3, -v1
	v_fma_f32 v3, 0.5, v18, v6
	v_fma_f32 v21, -v2, v0, v21
	v_fma_f32 v6, v18, 0.5, -v6
	v_fmac_f32_e32 v3, v2, v5
	v_fma_f32 v1, -v2, v0, v1
	v_fma_f32 v0, -v2, v5, v6
	ds_write2_b32 v65, v3, v21 offset1:1
	ds_write_b64 v4, v[0:1] offset:15232
	ds_read_b64 v[0:1], v35
	ds_read_b64 v[2:3], v4 offset:14336
	v_add_co_u32_e32 v5, vcc, s6, v13
	v_addc_co_u32_e32 v6, vcc, v19, v14, vcc
	s_waitcnt lgkmcnt(0)
	v_add_f32_e32 v13, v0, v2
	v_sub_f32_e32 v0, v0, v2
	v_add_f32_e32 v14, v1, v3
	v_sub_f32_e32 v1, v1, v3
	v_mul_f32_e32 v0, 0.5, v0
	v_mul_f32_e32 v2, 0.5, v14
	v_mul_f32_e32 v1, 0.5, v1
	s_waitcnt vmcnt(2)
	v_mul_f32_e32 v3, v8, v0
	v_fma_f32 v14, v2, v8, v1
	v_fma_f32 v1, v2, v8, -v1
	v_fma_f32 v8, 0.5, v13, v3
	v_fma_f32 v14, -v7, v0, v14
	v_fma_f32 v3, v13, 0.5, -v3
	v_fmac_f32_e32 v8, v7, v2
	global_load_dwordx2 v[5:6], v[5:6], off
	v_fma_f32 v1, -v7, v0, v1
	v_fma_f32 v0, -v7, v2, v3
	ds_write2_b32 v35, v8, v14 offset1:1
	ds_write_b64 v4, v[0:1] offset:14336
	ds_read_b64 v[0:1], v64
	ds_read_b64 v[2:3], v4 offset:13440
	v_add_co_u32_e32 v7, vcc, s6, v15
	v_addc_co_u32_e32 v8, vcc, v20, v16, vcc
	s_waitcnt lgkmcnt(0)
	v_add_f32_e32 v13, v0, v2
	v_sub_f32_e32 v0, v0, v2
	v_add_f32_e32 v14, v1, v3
	v_sub_f32_e32 v1, v1, v3
	v_mul_f32_e32 v0, 0.5, v0
	v_mul_f32_e32 v2, 0.5, v14
	;; [unrolled: 1-line block ×3, first 2 shown]
	s_waitcnt vmcnt(2)
	v_mul_f32_e32 v3, v10, v0
	v_fma_f32 v14, v2, v10, v1
	v_fma_f32 v1, v2, v10, -v1
	v_fma_f32 v10, 0.5, v13, v3
	v_fma_f32 v14, -v9, v0, v14
	v_fma_f32 v3, v13, 0.5, -v3
	v_fmac_f32_e32 v10, v9, v2
	v_fma_f32 v1, -v9, v0, v1
	v_fma_f32 v0, -v9, v2, v3
	ds_write2_b32 v64, v10, v14 offset1:1
	ds_write_b64 v4, v[0:1] offset:13440
	global_load_dwordx2 v[0:1], v[7:8], off
	ds_read_b64 v[2:3], v17
	ds_read_b64 v[7:8], v4 offset:12544
	v_mov_b32_e32 v35, v31
	v_mov_b32_e32 v16, s7
	s_waitcnt lgkmcnt(0)
	v_add_f32_e32 v9, v2, v7
	v_add_f32_e32 v10, v3, v8
	v_sub_f32_e32 v2, v2, v7
	v_sub_f32_e32 v3, v3, v8
	v_mul_f32_e32 v8, 0.5, v2
	v_mul_f32_e32 v13, 0.5, v3
	v_lshlrev_b64 v[2:3], 3, v[34:35]
	v_mul_f32_e32 v10, 0.5, v10
	s_waitcnt vmcnt(2)
	v_mul_f32_e32 v7, v12, v8
	v_fma_f32 v14, 0.5, v9, v7
	v_fma_f32 v15, v10, v12, v13
	v_add_co_u32_e32 v2, vcc, s6, v2
	v_fmac_f32_e32 v14, v11, v10
	v_addc_co_u32_e32 v3, vcc, v16, v3, vcc
	v_fma_f32 v15, -v11, v8, v15
	v_fma_f32 v7, v9, 0.5, -v7
	v_fma_f32 v9, v10, v12, -v13
	global_load_dwordx2 v[2:3], v[2:3], off
	v_fma_f32 v7, -v11, v10, v7
	v_fma_f32 v8, -v11, v8, v9
	ds_write2_b32 v17, v14, v15 offset1:1
	ds_write_b64 v4, v[7:8] offset:12544
	v_lshl_add_u32 v13, v38, 3, v63
	ds_read_b64 v[7:8], v13
	ds_read_b64 v[9:10], v4 offset:11648
	s_waitcnt lgkmcnt(0)
	v_add_f32_e32 v11, v8, v10
	v_mul_f32_e32 v15, 0.5, v11
	v_lshlrev_b64 v[11:12], 3, v[32:33]
	v_add_f32_e32 v14, v7, v9
	v_add_co_u32_e32 v11, vcc, s6, v11
	v_addc_co_u32_e32 v12, vcc, v16, v12, vcc
	global_load_dwordx2 v[11:12], v[11:12], off
	v_sub_f32_e32 v7, v7, v9
	v_sub_f32_e32 v8, v8, v10
	v_mul_f32_e32 v9, 0.5, v7
	v_mul_f32_e32 v8, 0.5, v8
	s_waitcnt vmcnt(3)
	v_mul_f32_e32 v7, v6, v9
	v_fma_f32 v10, 0.5, v14, v7
	v_fma_f32 v16, v15, v6, v8
	v_fmac_f32_e32 v10, v5, v15
	v_fma_f32 v16, -v5, v9, v16
	v_fma_f32 v7, v14, 0.5, -v7
	v_fma_f32 v6, v15, v6, -v8
	v_fma_f32 v7, -v5, v15, v7
	v_fma_f32 v8, -v5, v9, v6
	ds_write2_b32 v13, v10, v16 offset1:1
	ds_write_b64 v4, v[7:8] offset:11648
	v_lshl_add_u32 v9, v36, 3, v63
	ds_read_b64 v[5:6], v9
	ds_read_b64 v[7:8], v4 offset:10752
	s_waitcnt lgkmcnt(0)
	v_add_f32_e32 v10, v5, v7
	v_sub_f32_e32 v5, v5, v7
	v_add_f32_e32 v13, v6, v8
	v_sub_f32_e32 v6, v6, v8
	v_mul_f32_e32 v7, 0.5, v5
	v_mul_f32_e32 v13, 0.5, v13
	v_mul_f32_e32 v6, 0.5, v6
	s_waitcnt vmcnt(2)
	v_mul_f32_e32 v5, v1, v7
	v_fma_f32 v8, 0.5, v10, v5
	v_fma_f32 v14, v13, v1, v6
	v_fmac_f32_e32 v8, v0, v13
	v_fma_f32 v14, -v0, v7, v14
	v_fma_f32 v5, v10, 0.5, -v5
	v_fma_f32 v1, v13, v1, -v6
	v_fma_f32 v5, -v0, v13, v5
	v_fma_f32 v6, -v0, v7, v1
	ds_write2_b32 v9, v8, v14 offset1:1
	ds_write_b64 v4, v[5:6] offset:10752
	v_lshl_add_u32 v7, v34, 3, v63
	ds_read_b64 v[0:1], v7
	ds_read_b64 v[5:6], v4 offset:9856
	s_waitcnt lgkmcnt(0)
	v_add_f32_e32 v8, v0, v5
	v_sub_f32_e32 v0, v0, v5
	v_add_f32_e32 v9, v1, v6
	v_sub_f32_e32 v1, v1, v6
	v_mul_f32_e32 v5, 0.5, v0
	;; [unrolled: 23-line block ×3, first 2 shown]
	v_mul_f32_e32 v7, 0.5, v7
	v_mul_f32_e32 v1, 0.5, v1
	s_waitcnt vmcnt(0)
	v_mul_f32_e32 v0, v12, v2
	v_fma_f32 v3, 0.5, v6, v0
	v_fma_f32 v8, v7, v12, v1
	v_fmac_f32_e32 v3, v11, v7
	v_fma_f32 v8, -v11, v2, v8
	v_fma_f32 v0, v6, 0.5, -v0
	v_fma_f32 v1, v7, v12, -v1
	v_fma_f32 v0, -v11, v7, v0
	v_fma_f32 v1, -v11, v2, v1
	ds_write2_b32 v5, v3, v8 offset1:1
	ds_write_b64 v4, v[0:1] offset:8960
	s_waitcnt lgkmcnt(0)
	s_barrier
	s_and_saveexec_b64 s[2:3], s[0:1]
	s_cbranch_execz .LBB0_24
; %bb.22:
	v_mul_lo_u32 v0, s5, v28
	v_mul_lo_u32 v3, s4, v29
	v_mad_u64_u32 v[1:2], s[0:1], s4, v28, 0
	v_mov_b32_e32 v7, s11
	v_mov_b32_e32 v27, v31
	v_add3_u32 v2, v2, v3, v0
	v_lshlrev_b64 v[1:2], 3, v[1:2]
	v_lshl_add_u32 v0, v26, 3, v63
	v_add_co_u32_e32 v1, vcc, s10, v1
	v_addc_co_u32_e32 v9, vcc, v7, v2, vcc
	v_lshlrev_b64 v[7:8], 3, v[24:25]
	ds_read2_b64 v[3:6], v0 offset1:112
	v_add_co_u32_e32 v2, vcc, v1, v7
	v_addc_co_u32_e32 v1, vcc, v9, v8, vcc
	v_lshlrev_b64 v[7:8], 3, v[26:27]
	v_add_u32_e32 v30, 0x70, v26
	v_add_co_u32_e32 v7, vcc, v2, v7
	v_addc_co_u32_e32 v8, vcc, v1, v8, vcc
	s_waitcnt lgkmcnt(0)
	global_store_dwordx2 v[7:8], v[3:4], off
	v_lshlrev_b64 v[3:4], 3, v[30:31]
	v_add_u32_e32 v30, 0xe0, v26
	v_add_co_u32_e32 v3, vcc, v2, v3
	v_addc_co_u32_e32 v4, vcc, v1, v4, vcc
	global_store_dwordx2 v[3:4], v[5:6], off
	v_add_u32_e32 v3, 0x400, v0
	ds_read2_b64 v[3:6], v3 offset0:96 offset1:208
	v_lshlrev_b64 v[7:8], 3, v[30:31]
	v_add_u32_e32 v30, 0x150, v26
	v_add_co_u32_e32 v7, vcc, v2, v7
	v_addc_co_u32_e32 v8, vcc, v1, v8, vcc
	s_waitcnt lgkmcnt(0)
	global_store_dwordx2 v[7:8], v[3:4], off
	v_lshlrev_b64 v[3:4], 3, v[30:31]
	v_add_u32_e32 v30, 0x1c0, v26
	v_add_co_u32_e32 v3, vcc, v2, v3
	v_addc_co_u32_e32 v4, vcc, v1, v4, vcc
	global_store_dwordx2 v[3:4], v[5:6], off
	v_add_u32_e32 v3, 0xc00, v0
	ds_read2_b64 v[3:6], v3 offset0:64 offset1:176
	;; [unrolled: 13-line block ×7, first 2 shown]
	v_lshlrev_b64 v[7:8], 3, v[30:31]
	v_add_u32_e32 v30, 0x690, v26
	v_add_co_u32_e32 v7, vcc, v2, v7
	v_addc_co_u32_e32 v8, vcc, v1, v8, vcc
	s_waitcnt lgkmcnt(0)
	global_store_dwordx2 v[7:8], v[3:4], off
	v_lshlrev_b64 v[3:4], 3, v[30:31]
	v_add_u32_e32 v30, 0x700, v26
	v_add_co_u32_e32 v3, vcc, v2, v3
	v_addc_co_u32_e32 v4, vcc, v1, v4, vcc
	global_store_dwordx2 v[3:4], v[5:6], off
	v_add_u32_e32 v3, 0x3800, v0
	ds_read2_b64 v[3:6], v3 offset1:112
	v_lshlrev_b64 v[7:8], 3, v[30:31]
	v_add_u32_e32 v30, 0x770, v26
	v_add_co_u32_e32 v7, vcc, v2, v7
	v_addc_co_u32_e32 v8, vcc, v1, v8, vcc
	s_waitcnt lgkmcnt(0)
	global_store_dwordx2 v[7:8], v[3:4], off
	v_lshlrev_b64 v[3:4], 3, v[30:31]
	s_movk_i32 s0, 0x6f
	v_add_co_u32_e32 v3, vcc, v2, v3
	v_addc_co_u32_e32 v4, vcc, v1, v4, vcc
	v_cmp_eq_u32_e32 vcc, s0, v26
	global_store_dwordx2 v[3:4], v[5:6], off
	s_and_b64 exec, exec, vcc
	s_cbranch_execz .LBB0_24
; %bb.23:
	ds_read_b64 v[3:4], v0 offset:15240
	v_add_co_u32_e32 v0, vcc, 0x3000, v2
	v_addc_co_u32_e32 v1, vcc, 0, v1, vcc
	s_waitcnt lgkmcnt(0)
	global_store_dwordx2 v[0:1], v[3:4], off offset:3840
.LBB0_24:
	s_endpgm
	.section	.rodata,"a",@progbits
	.p2align	6, 0x0
	.amdhsa_kernel fft_rtc_back_len2016_factors_2_2_2_2_2_3_3_7_wgs_224_tpt_112_halfLds_sp_op_CI_CI_unitstride_sbrr_R2C_dirReg
		.amdhsa_group_segment_fixed_size 0
		.amdhsa_private_segment_fixed_size 0
		.amdhsa_kernarg_size 104
		.amdhsa_user_sgpr_count 6
		.amdhsa_user_sgpr_private_segment_buffer 1
		.amdhsa_user_sgpr_dispatch_ptr 0
		.amdhsa_user_sgpr_queue_ptr 0
		.amdhsa_user_sgpr_kernarg_segment_ptr 1
		.amdhsa_user_sgpr_dispatch_id 0
		.amdhsa_user_sgpr_flat_scratch_init 0
		.amdhsa_user_sgpr_private_segment_size 0
		.amdhsa_uses_dynamic_stack 0
		.amdhsa_system_sgpr_private_segment_wavefront_offset 0
		.amdhsa_system_sgpr_workgroup_id_x 1
		.amdhsa_system_sgpr_workgroup_id_y 0
		.amdhsa_system_sgpr_workgroup_id_z 0
		.amdhsa_system_sgpr_workgroup_info 0
		.amdhsa_system_vgpr_workitem_id 0
		.amdhsa_next_free_vgpr 82
		.amdhsa_next_free_sgpr 28
		.amdhsa_reserve_vcc 1
		.amdhsa_reserve_flat_scratch 0
		.amdhsa_float_round_mode_32 0
		.amdhsa_float_round_mode_16_64 0
		.amdhsa_float_denorm_mode_32 3
		.amdhsa_float_denorm_mode_16_64 3
		.amdhsa_dx10_clamp 1
		.amdhsa_ieee_mode 1
		.amdhsa_fp16_overflow 0
		.amdhsa_exception_fp_ieee_invalid_op 0
		.amdhsa_exception_fp_denorm_src 0
		.amdhsa_exception_fp_ieee_div_zero 0
		.amdhsa_exception_fp_ieee_overflow 0
		.amdhsa_exception_fp_ieee_underflow 0
		.amdhsa_exception_fp_ieee_inexact 0
		.amdhsa_exception_int_div_zero 0
	.end_amdhsa_kernel
	.text
.Lfunc_end0:
	.size	fft_rtc_back_len2016_factors_2_2_2_2_2_3_3_7_wgs_224_tpt_112_halfLds_sp_op_CI_CI_unitstride_sbrr_R2C_dirReg, .Lfunc_end0-fft_rtc_back_len2016_factors_2_2_2_2_2_3_3_7_wgs_224_tpt_112_halfLds_sp_op_CI_CI_unitstride_sbrr_R2C_dirReg
                                        ; -- End function
	.section	.AMDGPU.csdata,"",@progbits
; Kernel info:
; codeLenInByte = 12992
; NumSgprs: 32
; NumVgprs: 82
; ScratchSize: 0
; MemoryBound: 0
; FloatMode: 240
; IeeeMode: 1
; LDSByteSize: 0 bytes/workgroup (compile time only)
; SGPRBlocks: 3
; VGPRBlocks: 20
; NumSGPRsForWavesPerEU: 32
; NumVGPRsForWavesPerEU: 82
; Occupancy: 3
; WaveLimiterHint : 1
; COMPUTE_PGM_RSRC2:SCRATCH_EN: 0
; COMPUTE_PGM_RSRC2:USER_SGPR: 6
; COMPUTE_PGM_RSRC2:TRAP_HANDLER: 0
; COMPUTE_PGM_RSRC2:TGID_X_EN: 1
; COMPUTE_PGM_RSRC2:TGID_Y_EN: 0
; COMPUTE_PGM_RSRC2:TGID_Z_EN: 0
; COMPUTE_PGM_RSRC2:TIDIG_COMP_CNT: 0
	.type	__hip_cuid_742d87e654f747d8,@object ; @__hip_cuid_742d87e654f747d8
	.section	.bss,"aw",@nobits
	.globl	__hip_cuid_742d87e654f747d8
__hip_cuid_742d87e654f747d8:
	.byte	0                               ; 0x0
	.size	__hip_cuid_742d87e654f747d8, 1

	.ident	"AMD clang version 19.0.0git (https://github.com/RadeonOpenCompute/llvm-project roc-6.4.0 25133 c7fe45cf4b819c5991fe208aaa96edf142730f1d)"
	.section	".note.GNU-stack","",@progbits
	.addrsig
	.addrsig_sym __hip_cuid_742d87e654f747d8
	.amdgpu_metadata
---
amdhsa.kernels:
  - .args:
      - .actual_access:  read_only
        .address_space:  global
        .offset:         0
        .size:           8
        .value_kind:     global_buffer
      - .offset:         8
        .size:           8
        .value_kind:     by_value
      - .actual_access:  read_only
        .address_space:  global
        .offset:         16
        .size:           8
        .value_kind:     global_buffer
      - .actual_access:  read_only
        .address_space:  global
        .offset:         24
        .size:           8
        .value_kind:     global_buffer
      - .actual_access:  read_only
        .address_space:  global
        .offset:         32
        .size:           8
        .value_kind:     global_buffer
      - .offset:         40
        .size:           8
        .value_kind:     by_value
      - .actual_access:  read_only
        .address_space:  global
        .offset:         48
        .size:           8
        .value_kind:     global_buffer
      - .actual_access:  read_only
        .address_space:  global
        .offset:         56
        .size:           8
        .value_kind:     global_buffer
      - .offset:         64
        .size:           4
        .value_kind:     by_value
      - .actual_access:  read_only
        .address_space:  global
        .offset:         72
        .size:           8
        .value_kind:     global_buffer
      - .actual_access:  read_only
        .address_space:  global
        .offset:         80
        .size:           8
        .value_kind:     global_buffer
      - .actual_access:  read_only
        .address_space:  global
        .offset:         88
        .size:           8
        .value_kind:     global_buffer
      - .actual_access:  write_only
        .address_space:  global
        .offset:         96
        .size:           8
        .value_kind:     global_buffer
    .group_segment_fixed_size: 0
    .kernarg_segment_align: 8
    .kernarg_segment_size: 104
    .language:       OpenCL C
    .language_version:
      - 2
      - 0
    .max_flat_workgroup_size: 224
    .name:           fft_rtc_back_len2016_factors_2_2_2_2_2_3_3_7_wgs_224_tpt_112_halfLds_sp_op_CI_CI_unitstride_sbrr_R2C_dirReg
    .private_segment_fixed_size: 0
    .sgpr_count:     32
    .sgpr_spill_count: 0
    .symbol:         fft_rtc_back_len2016_factors_2_2_2_2_2_3_3_7_wgs_224_tpt_112_halfLds_sp_op_CI_CI_unitstride_sbrr_R2C_dirReg.kd
    .uniform_work_group_size: 1
    .uses_dynamic_stack: false
    .vgpr_count:     82
    .vgpr_spill_count: 0
    .wavefront_size: 64
amdhsa.target:   amdgcn-amd-amdhsa--gfx906
amdhsa.version:
  - 1
  - 2
...

	.end_amdgpu_metadata
